;; amdgpu-corpus repo=ROCm/vllm kind=compiled arch=gfx906 opt=O3
	.amdgcn_target "amdgcn-amd-amdhsa--gfx906"
	.amdhsa_code_object_version 6
	.section	.text._ZN4vllm24act_and_mul_quant_kernelIfTnPFT_RKS1_EXadL_ZNS_11silu_kernelIfEES1_S3_EEN3c1013Float8_e4m3fnEEEvPT1_PS2_PKfi,"axG",@progbits,_ZN4vllm24act_and_mul_quant_kernelIfTnPFT_RKS1_EXadL_ZNS_11silu_kernelIfEES1_S3_EEN3c1013Float8_e4m3fnEEEvPT1_PS2_PKfi,comdat
	.protected	_ZN4vllm24act_and_mul_quant_kernelIfTnPFT_RKS1_EXadL_ZNS_11silu_kernelIfEES1_S3_EEN3c1013Float8_e4m3fnEEEvPT1_PS2_PKfi ; -- Begin function _ZN4vllm24act_and_mul_quant_kernelIfTnPFT_RKS1_EXadL_ZNS_11silu_kernelIfEES1_S3_EEN3c1013Float8_e4m3fnEEEvPT1_PS2_PKfi
	.globl	_ZN4vllm24act_and_mul_quant_kernelIfTnPFT_RKS1_EXadL_ZNS_11silu_kernelIfEES1_S3_EEN3c1013Float8_e4m3fnEEEvPT1_PS2_PKfi
	.p2align	8
	.type	_ZN4vllm24act_and_mul_quant_kernelIfTnPFT_RKS1_EXadL_ZNS_11silu_kernelIfEES1_S3_EEN3c1013Float8_e4m3fnEEEvPT1_PS2_PKfi,@function
_ZN4vllm24act_and_mul_quant_kernelIfTnPFT_RKS1_EXadL_ZNS_11silu_kernelIfEES1_S3_EEN3c1013Float8_e4m3fnEEEvPT1_PS2_PKfi: ; @_ZN4vllm24act_and_mul_quant_kernelIfTnPFT_RKS1_EXadL_ZNS_11silu_kernelIfEES1_S3_EEN3c1013Float8_e4m3fnEEEvPT1_PS2_PKfi
; %bb.0:
	s_load_dword s1, s[4:5], 0x24
	s_add_u32 s12, s4, 32
	s_addc_u32 s13, s5, 0
	s_load_dword s30, s[4:5], 0x18
	s_load_dwordx4 s[8:11], s[4:5], 0x0
	s_mov_b32 s0, s7
	s_waitcnt lgkmcnt(0)
	s_abs_i32 s2, s1
	v_cvt_f32_u32_e32 v1, s2
	s_sub_i32 s7, 0, s2
	s_add_i32 s3, s30, s1
	s_add_i32 s3, s3, -1
	v_rcp_iflag_f32_e32 v1, v1
	s_xor_b32 s1, s3, s1
	s_abs_i32 s3, s3
	s_ashr_i32 s1, s1, 31
	v_mul_f32_e32 v1, 0x4f7ffffe, v1
	v_cvt_u32_f32_e32 v1, v1
	v_readfirstlane_b32 s14, v1
	s_mul_i32 s7, s7, s14
	s_mul_hi_u32 s7, s14, s7
	s_add_i32 s14, s14, s7
	s_mul_hi_u32 s7, s3, s14
	s_mul_i32 s14, s7, s2
	s_sub_i32 s3, s3, s14
	s_add_i32 s14, s7, 1
	s_sub_i32 s15, s3, s2
	s_cmp_ge_u32 s3, s2
	s_cselect_b32 s7, s14, s7
	s_cselect_b32 s3, s15, s3
	s_add_i32 s14, s7, 1
	s_cmp_ge_u32 s3, s2
	s_cselect_b32 s2, s14, s7
	s_xor_b32 s2, s2, s1
	s_sub_i32 s1, s2, s1
	s_and_b32 s2, s1, 3
	s_cmp_eq_u32 s2, 0
	s_mov_b32 s7, 0
	s_cbranch_scc1 .LBB0_2
; %bb.1:
	s_ashr_i32 s2, s1, 31
	s_lshr_b32 s2, s2, 30
	s_add_i32 s1, s1, s2
	s_and_b32 s1, s1, -4
	s_add_i32 s1, s1, 4
.LBB0_2:
	s_load_dwordx2 s[2:3], s[4:5], 0x10
	s_mul_i32 s14, s1, s0
	s_add_i32 s0, s14, s1
	s_ashr_i32 s31, s30, 31
	s_mul_i32 s4, s30, s6
	s_waitcnt lgkmcnt(0)
	s_load_dword s15, s[2:3], 0x0
	s_min_i32 s2, s0, s30
	s_abs_i32 s3, s2
	v_cvt_f32_u32_e32 v1, s3
	s_waitcnt lgkmcnt(0)
	v_div_scale_f32 v2, s[0:1], s15, s15, 1.0
	v_div_scale_f32 v3, vcc, 1.0, s15, 1.0
	v_rcp_iflag_f32_e32 v1, v1
	s_mul_hi_u32 s0, s30, s6
	s_mul_i32 s1, s31, s6
	s_add_i32 s5, s0, s1
	v_mul_f32_e32 v1, 0x4f7ffffe, v1
	v_cvt_u32_f32_e32 v1, v1
	s_sub_i32 s0, 0, s3
	v_readfirstlane_b32 s1, v1
	s_mul_i32 s0, s0, s1
	s_mul_hi_u32 s0, s1, s0
	v_rcp_f32_e32 v1, v2
	s_add_i32 s1, s1, s0
	s_lshr_b32 s0, s1, 30
	s_mul_i32 s0, s0, s3
	v_fma_f32 v4, -v2, v1, 1.0
	v_fmac_f32_e32 v1, v4, v1
	v_mul_f32_e32 v4, v3, v1
	v_fma_f32 v5, -v2, v4, v3
	v_fmac_f32_e32 v4, v5, v1
	v_fma_f32 v2, -v2, v4, v3
	v_div_fmas_f32 v1, v2, v1, v4
	s_sub_i32 s0, 4, s0
	s_sub_i32 s1, s0, s3
	s_cmp_ge_u32 s0, s3
	s_cselect_b32 s0, s1, s0
	s_sub_i32 s1, s0, s3
	s_cmp_ge_u32 s0, s3
	s_cselect_b32 s3, s1, s0
	s_cmp_eq_u32 s3, 0
	s_cselect_b64 s[0:1], -1, 0
	v_cndmask_b32_e64 v18, 0, 1, s[0:1]
	s_ashr_i32 s0, s14, 31
	s_lshr_b32 s0, s0, 30
	s_add_i32 s14, s14, s0
	s_ashr_i32 s0, s14, 2
	v_add_u32_e32 v19, s0, v0
	v_div_fixup_f32 v17, v1, s15, 1.0
	v_cmp_lt_i32_e32 vcc, v19, v18
	s_and_saveexec_b64 s[14:15], vcc
	s_cbranch_execz .LBB0_69
; %bb.3:
	s_load_dword s1, s[12:13], 0xc
	s_ashr_i32 s18, s0, 31
	v_add_co_u32_e32 v1, vcc, s0, v0
	v_mov_b32_e32 v2, s18
	s_waitcnt lgkmcnt(0)
	s_and_b32 s33, s1, 0xffff
	s_lshl_b64 s[0:1], s[6:7], 3
	s_or_b32 s0, s0, 4
	v_addc_co_u32_e32 v2, vcc, 0, v2, vcc
	s_mul_i32 s18, s0, s31
	s_mul_hi_u32 s19, s0, s30
	v_lshlrev_b64 v[3:4], 4, v[1:2]
	s_add_i32 s18, s19, s18
	s_mul_i32 s1, s1, s30
	s_lshl_b64 s[16:17], s[4:5], 3
	s_lshl_b32 s34, s33, 4
	s_add_i32 s1, s18, s1
	v_mov_b32_e32 v5, s11
	v_add_co_u32_e32 v20, vcc, s10, v3
	s_mul_i32 s35, s0, s30
	v_lshlrev_b64 v[1:2], 3, v[1:2]
	s_add_u32 s0, s8, s4
	v_addc_co_u32_e32 v21, vcc, v5, v4, vcc
	s_addc_u32 s18, s9, s5
	v_mov_b32_e32 v3, s18
	v_add_co_u32_e32 v11, vcc, s0, v1
	v_mov_b32_e32 v10, 0
	v_addc_co_u32_e32 v12, vcc, v3, v2, vcc
	s_lshl_b32 s36, s33, 3
	s_mov_b64 s[18:19], 0
	v_mov_b32_e32 v22, s17
	v_mov_b32_e32 v23, s1
	s_mov_b32 s17, 0xbfb8aa3b
	s_mov_b32 s37, 0x42ce8ed0
	;; [unrolled: 1-line block ×3, first 2 shown]
	v_mov_b32_e32 v24, 0x7f800000
	s_mov_b64 s[20:21], 0x7f800000
	s_movk_i32 s39, 0x80
	s_mov_b64 s[22:23], 0x43e00001
	s_movk_i32 s40, 0x79
	s_movk_i32 s41, 0x7f
	s_mov_b32 s42, 0x4020c0c
	s_mov_b32 s43, 0xff00
	s_movk_i32 s44, 0xff
	v_mov_b32_e32 v25, 0x78
	v_mov_b32_e32 v26, 0xffffff89
	s_branch .LBB0_5
.LBB0_4:                                ;   in Loop: Header=BB0_5 Depth=1
	s_or_b64 exec, exec, s[0:1]
	v_lshlrev_b32_e32 v2, 16, v2
	v_perm_b32 v2, v4, v2, s42
	v_lshlrev_b32_e32 v1, 8, v1
	v_add_co_u32_e32 v20, vcc, s34, v20
	v_and_or_b32 v1, v1, s43, v2
	v_add_u32_e32 v19, s33, v19
	v_addc_co_u32_e32 v21, vcc, 0, v21, vcc
	v_and_or_b32 v9, v13, s44, v1
	v_cmp_ge_i32_e32 vcc, v19, v18
	global_store_dwordx2 v[11:12], v[9:10], off
	s_or_b64 s[18:19], vcc, s[18:19]
	v_add_co_u32_e32 v11, vcc, s36, v11
	v_addc_co_u32_e32 v12, vcc, 0, v12, vcc
	s_andn2_b64 exec, exec, s[18:19]
	s_cbranch_execz .LBB0_69
.LBB0_5:                                ; =>This Inner Loop Header: Depth=1
	v_add_co_u32_e32 v1, vcc, s16, v20
	v_addc_co_u32_e32 v2, vcc, v21, v22, vcc
	global_load_dwordx4 v[1:4], v[1:2], off
	v_add_co_u32_e32 v5, vcc, s35, v20
	v_addc_co_u32_e32 v6, vcc, v21, v23, vcc
	global_load_dwordx4 v[5:8], v[5:6], off
	s_waitcnt vmcnt(1)
	v_mul_f32_e32 v9, 0xbfb8aa3b, v1
	v_fma_f32 v13, v1, s17, -v9
	v_rndne_f32_e32 v14, v9
	v_fmac_f32_e32 v13, 0xb2a5705f, v1
	v_sub_f32_e32 v9, v9, v14
	v_add_f32_e32 v9, v9, v13
	v_cvt_i32_f32_e32 v14, v14
	v_exp_f32_e32 v9, v9
	v_cmp_nlt_f32_e32 vcc, s37, v1
	v_ldexp_f32 v9, v9, v14
	v_cndmask_b32_e32 v9, 0, v9, vcc
	v_cmp_ngt_f32_e32 vcc, s38, v1
	v_cndmask_b32_e32 v9, v24, v9, vcc
	v_add_f32_e32 v9, 1.0, v9
	v_div_scale_f32 v13, s[0:1], v9, v9, v1
	v_div_scale_f32 v14, vcc, v1, v9, v1
	v_rcp_f32_e32 v15, v13
	v_fma_f32 v16, -v13, v15, 1.0
	v_fmac_f32_e32 v15, v16, v15
	v_mul_f32_e32 v16, v14, v15
	v_fma_f32 v27, -v13, v16, v14
	v_fmac_f32_e32 v16, v27, v15
	v_fma_f32 v13, -v13, v16, v14
	v_div_fmas_f32 v13, v13, v15, v16
	v_div_fixup_f32 v1, v13, v9, v1
	s_waitcnt vmcnt(0)
	v_mul_f32_e32 v1, v5, v1
	v_mul_f32_e32 v1, v17, v1
	v_min_f32_e32 v1, 0x43e00000, v1
	v_max_f32_e32 v5, 0xc3e00000, v1
	v_and_b32_e32 v9, 0x7f800000, v5
	v_cmp_ne_u64_e32 vcc, s[20:21], v[9:10]
                                        ; implicit-def: $vgpr13_vgpr14
	s_and_saveexec_b64 s[0:1], vcc
	s_xor_b64 s[24:25], exec, s[0:1]
	s_cbranch_execz .LBB0_19
; %bb.6:                                ;   in Loop: Header=BB0_5 Depth=1
	v_and_b32_e32 v9, 0x7fffffff, v5
	v_cmp_gt_u64_e32 vcc, s[22:23], v[9:10]
	v_and_b32_sdwa v1, v5, s39 dst_sel:DWORD dst_unused:UNUSED_PAD src0_sel:BYTE_3 src1_sel:DWORD
                                        ; implicit-def: $vgpr13_vgpr14
	s_and_saveexec_b64 s[0:1], vcc
	s_xor_b64 s[26:27], exec, s[0:1]
	s_cbranch_execz .LBB0_16
; %bb.7:                                ;   in Loop: Header=BB0_5 Depth=1
	v_mov_b32_e32 v13, 0
	v_cmp_ne_u32_e32 vcc, 0, v5
	v_mov_b32_e32 v14, 0
	s_and_saveexec_b64 s[28:29], vcc
	s_cbranch_execz .LBB0_15
; %bb.8:                                ;   in Loop: Header=BB0_5 Depth=1
	v_and_b32_e32 v9, 0x7fffff, v5
	v_bfe_u32 v5, v5, 23, 8
	v_sub_u32_e64 v13, s40, v5 clamp
	v_cmp_eq_u32_e32 vcc, 0, v5
	v_cndmask_b32_e32 v27, v13, v25, vcc
	v_or_b32_e32 v15, 0x800000, v9
	v_add_u32_e32 v13, 20, v27
	v_lshlrev_b64 v[13:14], v13, -1
	v_cndmask_b32_e32 v9, v15, v9, vcc
	v_add_u32_e32 v15, 19, v27
	v_lshlrev_b64 v[15:16], v15, 1
	v_bfi_b32 v14, v14, 0, 0
	v_bfi_b32 v13, v13, 0, v9
	v_cmp_eq_u64_e64 s[0:1], v[13:14], v[15:16]
	v_lshrrev_b64 v[13:14], v27, v[9:10]
	v_add_u32_e32 v5, 0xffffff88, v5
	v_cndmask_b32_e32 v5, v5, v26, vcc
	v_lshrrev_b32_e32 v9, 23, v13
	v_add3_u32 v15, v5, v27, v9
	v_and_b32_e32 v9, 0x100000, v13
	v_cmp_eq_u64_e32 vcc, 0, v[9:10]
	v_add_u32_e32 v16, -1, v15
	s_and_b64 vcc, vcc, s[0:1]
	v_subbrev_co_u32_e32 v5, vcc, 0, v13, vcc
	v_and_b32_e32 v5, 0xfffff, v5
	v_add_u32_e32 v9, v5, v13
	v_cmp_ne_u32_e32 vcc, 0, v16
                                        ; implicit-def: $vgpr13_vgpr14
                                        ; implicit-def: $vgpr5
	s_and_saveexec_b64 s[0:1], vcc
	s_xor_b64 s[0:1], exec, s[0:1]
; %bb.9:                                ;   in Loop: Header=BB0_5 Depth=1
	v_and_b32_e32 v27, 0x1000000, v9
	v_mov_b32_e32 v28, v10
	v_cmp_eq_u64_e32 vcc, 0, v[27:28]
	v_bfe_u32 v5, v9, 24, 1
	v_lshrrev_b64 v[13:14], v5, v[9:10]
	v_cndmask_b32_e32 v5, v15, v16, vcc
; %bb.10:                               ;   in Loop: Header=BB0_5 Depth=1
	s_andn2_saveexec_b64 s[0:1], s[0:1]
; %bb.11:                               ;   in Loop: Header=BB0_5 Depth=1
	v_mov_b32_e32 v14, v10
	v_bfe_u32 v5, v9, 23, 1
	v_mov_b32_e32 v13, v9
; %bb.12:                               ;   in Loop: Header=BB0_5 Depth=1
	s_or_b64 exec, exec, s[0:1]
	v_lshrrev_b64 v[13:14], 20, v[13:14]
	v_cmp_gt_i32_e32 vcc, 16, v5
	v_cndmask_b32_e32 v16, 0, v14, vcc
	v_cndmask_b32_e32 v15, 7, v13, vcc
	v_cmp_ne_u64_e32 vcc, 0, v[15:16]
	v_cmp_ne_u32_e64 s[0:1], 0, v5
	v_mov_b32_e32 v14, v2
	s_or_b64 s[0:1], s[0:1], vcc
	v_mov_b32_e32 v13, v1
	s_and_saveexec_b64 s[46:47], s[0:1]
	s_xor_b64 s[0:1], exec, s[46:47]
; %bb.13:                               ;   in Loop: Header=BB0_5 Depth=1
	v_min_i32_e32 v5, 15, v5
	v_lshl_or_b32 v1, v5, 3, v1
	v_and_or_b32 v13, v15, 7, v1
; %bb.14:                               ;   in Loop: Header=BB0_5 Depth=1
	s_andn2_saveexec_b64 s[0:1], s[0:1]
	s_or_b64 exec, exec, s[0:1]
.LBB0_15:                               ;   in Loop: Header=BB0_5 Depth=1
	s_or_b64 exec, exec, s[28:29]
                                        ; implicit-def: $vgpr1
.LBB0_16:                               ;   in Loop: Header=BB0_5 Depth=1
	s_andn2_saveexec_b64 s[0:1], s[26:27]
; %bb.17:                               ;   in Loop: Header=BB0_5 Depth=1
	v_or_b32_e32 v13, 0x7e, v1
; %bb.18:                               ;   in Loop: Header=BB0_5 Depth=1
	s_or_b64 exec, exec, s[0:1]
                                        ; implicit-def: $vgpr5
.LBB0_19:                               ;   in Loop: Header=BB0_5 Depth=1
	s_andn2_saveexec_b64 s[0:1], s[24:25]
; %bb.20:                               ;   in Loop: Header=BB0_5 Depth=1
	v_or_b32_sdwa v13, v5, s41 dst_sel:DWORD dst_unused:UNUSED_PAD src0_sel:BYTE_3 src1_sel:DWORD
; %bb.21:                               ;   in Loop: Header=BB0_5 Depth=1
	s_or_b64 exec, exec, s[0:1]
	v_mul_f32_e32 v1, 0xbfb8aa3b, v2
	v_rndne_f32_e32 v5, v1
	v_sub_f32_e32 v9, v1, v5
	v_fma_f32 v1, v2, s17, -v1
	v_fmac_f32_e32 v1, 0xb2a5705f, v2
	v_add_f32_e32 v1, v9, v1
	v_cvt_i32_f32_e32 v5, v5
	v_exp_f32_e32 v1, v1
	v_cmp_nlt_f32_e32 vcc, s37, v2
	v_ldexp_f32 v1, v1, v5
	v_cndmask_b32_e32 v1, 0, v1, vcc
	v_cmp_ngt_f32_e32 vcc, s38, v2
	v_cndmask_b32_e32 v1, v24, v1, vcc
	v_add_f32_e32 v1, 1.0, v1
	v_div_scale_f32 v5, s[0:1], v1, v1, v2
	v_div_scale_f32 v9, vcc, v2, v1, v2
	v_rcp_f32_e32 v14, v5
	v_fma_f32 v15, -v5, v14, 1.0
	v_fmac_f32_e32 v14, v15, v14
	v_mul_f32_e32 v15, v9, v14
	v_fma_f32 v16, -v5, v15, v9
	v_fmac_f32_e32 v15, v16, v14
	v_fma_f32 v5, -v5, v15, v9
	v_div_fmas_f32 v5, v5, v14, v15
	v_div_fixup_f32 v1, v5, v1, v2
	v_mul_f32_e32 v1, v6, v1
	v_mul_f32_e32 v1, v17, v1
	v_min_f32_e32 v1, 0x43e00000, v1
	v_max_f32_e32 v6, 0xc3e00000, v1
	v_and_b32_e32 v9, 0x7f800000, v6
	v_cmp_ne_u64_e32 vcc, s[20:21], v[9:10]
                                        ; implicit-def: $vgpr1_vgpr2
	s_and_saveexec_b64 s[0:1], vcc
	s_xor_b64 s[24:25], exec, s[0:1]
	s_cbranch_execz .LBB0_35
; %bb.22:                               ;   in Loop: Header=BB0_5 Depth=1
	v_and_b32_e32 v9, 0x7fffffff, v6
	v_cmp_gt_u64_e32 vcc, s[22:23], v[9:10]
	v_and_b32_sdwa v5, v6, s39 dst_sel:DWORD dst_unused:UNUSED_PAD src0_sel:BYTE_3 src1_sel:DWORD
                                        ; implicit-def: $vgpr1_vgpr2
	s_and_saveexec_b64 s[0:1], vcc
	s_xor_b64 s[26:27], exec, s[0:1]
	s_cbranch_execz .LBB0_32
; %bb.23:                               ;   in Loop: Header=BB0_5 Depth=1
	v_mov_b32_e32 v1, 0
	v_cmp_ne_u32_e32 vcc, 0, v6
	v_mov_b32_e32 v2, 0
	s_and_saveexec_b64 s[28:29], vcc
	s_cbranch_execz .LBB0_31
; %bb.24:                               ;   in Loop: Header=BB0_5 Depth=1
	v_and_b32_e32 v9, 0x7fffff, v6
	v_bfe_u32 v6, v6, 23, 8
	v_sub_u32_e64 v1, s40, v6 clamp
	v_cmp_eq_u32_e32 vcc, 0, v6
	v_cndmask_b32_e32 v16, v1, v25, vcc
	v_or_b32_e32 v14, 0x800000, v9
	v_add_u32_e32 v1, 20, v16
	v_lshlrev_b64 v[1:2], v1, -1
	v_cndmask_b32_e32 v9, v14, v9, vcc
	v_add_u32_e32 v14, 19, v16
	v_lshlrev_b64 v[14:15], v14, 1
	v_bfi_b32 v2, v2, 0, 0
	v_bfi_b32 v1, v1, 0, v9
	v_cmp_eq_u64_e64 s[0:1], v[1:2], v[14:15]
	v_lshrrev_b64 v[1:2], v16, v[9:10]
	v_add_u32_e32 v2, 0xffffff88, v6
	v_and_b32_e32 v9, 0x100000, v1
	v_cndmask_b32_e32 v2, v2, v26, vcc
	v_cmp_eq_u64_e32 vcc, 0, v[9:10]
	v_lshrrev_b32_e32 v6, 23, v1
	s_and_b64 vcc, vcc, s[0:1]
	v_add3_u32 v14, v2, v16, v6
	v_subbrev_co_u32_e32 v2, vcc, 0, v1, vcc
	v_add_u32_e32 v15, -1, v14
	v_and_b32_e32 v2, 0xfffff, v2
	v_add_u32_e32 v9, v2, v1
	v_cmp_ne_u32_e32 vcc, 0, v15
                                        ; implicit-def: $vgpr1_vgpr2
                                        ; implicit-def: $vgpr6
	s_and_saveexec_b64 s[0:1], vcc
	s_xor_b64 s[0:1], exec, s[0:1]
; %bb.25:                               ;   in Loop: Header=BB0_5 Depth=1
	v_and_b32_e32 v27, 0x1000000, v9
	v_mov_b32_e32 v28, v10
	v_bfe_u32 v1, v9, 24, 1
	v_cmp_eq_u64_e32 vcc, 0, v[27:28]
	v_lshrrev_b64 v[1:2], v1, v[9:10]
	v_cndmask_b32_e32 v6, v14, v15, vcc
; %bb.26:                               ;   in Loop: Header=BB0_5 Depth=1
	s_andn2_saveexec_b64 s[0:1], s[0:1]
; %bb.27:                               ;   in Loop: Header=BB0_5 Depth=1
	v_mov_b32_e32 v1, v9
	v_bfe_u32 v6, v9, 23, 1
	v_mov_b32_e32 v2, v10
; %bb.28:                               ;   in Loop: Header=BB0_5 Depth=1
	s_or_b64 exec, exec, s[0:1]
	v_lshrrev_b64 v[1:2], 20, v[1:2]
	v_cmp_gt_i32_e32 vcc, 16, v6
	v_cndmask_b32_e32 v15, 0, v2, vcc
	v_cndmask_b32_e32 v14, 7, v1, vcc
	v_cmp_ne_u64_e32 vcc, 0, v[14:15]
	v_cmp_ne_u32_e64 s[0:1], 0, v6
	s_or_b64 s[0:1], s[0:1], vcc
	v_mov_b32_e32 v1, v5
	v_mov_b32_e32 v2, v6
	s_and_saveexec_b64 s[46:47], s[0:1]
	s_xor_b64 s[0:1], exec, s[46:47]
; %bb.29:                               ;   in Loop: Header=BB0_5 Depth=1
	v_min_i32_e32 v1, 15, v6
	v_lshl_or_b32 v1, v1, 3, v5
	v_and_or_b32 v1, v14, 7, v1
; %bb.30:                               ;   in Loop: Header=BB0_5 Depth=1
	s_andn2_saveexec_b64 s[0:1], s[0:1]
	s_or_b64 exec, exec, s[0:1]
.LBB0_31:                               ;   in Loop: Header=BB0_5 Depth=1
	s_or_b64 exec, exec, s[28:29]
                                        ; implicit-def: $vgpr5
.LBB0_32:                               ;   in Loop: Header=BB0_5 Depth=1
	s_andn2_saveexec_b64 s[0:1], s[26:27]
; %bb.33:                               ;   in Loop: Header=BB0_5 Depth=1
	v_or_b32_e32 v1, 0x7e, v5
; %bb.34:                               ;   in Loop: Header=BB0_5 Depth=1
	s_or_b64 exec, exec, s[0:1]
                                        ; implicit-def: $vgpr6
.LBB0_35:                               ;   in Loop: Header=BB0_5 Depth=1
	s_andn2_saveexec_b64 s[0:1], s[24:25]
; %bb.36:                               ;   in Loop: Header=BB0_5 Depth=1
	v_or_b32_sdwa v1, v6, s41 dst_sel:DWORD dst_unused:UNUSED_PAD src0_sel:BYTE_3 src1_sel:DWORD
; %bb.37:                               ;   in Loop: Header=BB0_5 Depth=1
	s_or_b64 exec, exec, s[0:1]
	v_mul_f32_e32 v2, 0xbfb8aa3b, v3
	v_rndne_f32_e32 v5, v2
	v_sub_f32_e32 v6, v2, v5
	v_fma_f32 v2, v3, s17, -v2
	v_fmac_f32_e32 v2, 0xb2a5705f, v3
	v_add_f32_e32 v2, v6, v2
	v_cvt_i32_f32_e32 v5, v5
	v_exp_f32_e32 v2, v2
	v_cmp_nlt_f32_e32 vcc, s37, v3
	v_ldexp_f32 v2, v2, v5
	v_cndmask_b32_e32 v2, 0, v2, vcc
	v_cmp_ngt_f32_e32 vcc, s38, v3
	v_cndmask_b32_e32 v2, v24, v2, vcc
	v_add_f32_e32 v2, 1.0, v2
	v_div_scale_f32 v5, s[0:1], v2, v2, v3
	v_div_scale_f32 v6, vcc, v3, v2, v3
	v_rcp_f32_e32 v9, v5
	v_fma_f32 v14, -v5, v9, 1.0
	v_fmac_f32_e32 v9, v14, v9
	v_mul_f32_e32 v14, v6, v9
	v_fma_f32 v15, -v5, v14, v6
	v_fmac_f32_e32 v14, v15, v9
	v_fma_f32 v5, -v5, v14, v6
	v_div_fmas_f32 v5, v5, v9, v14
	v_div_fixup_f32 v2, v5, v2, v3
	v_mul_f32_e32 v2, v7, v2
	v_mul_f32_e32 v2, v17, v2
	v_min_f32_e32 v2, 0x43e00000, v2
	v_max_f32_e32 v6, 0xc3e00000, v2
	v_and_b32_e32 v9, 0x7f800000, v6
	v_cmp_ne_u64_e32 vcc, s[20:21], v[9:10]
                                        ; implicit-def: $vgpr2_vgpr3
	s_and_saveexec_b64 s[0:1], vcc
	s_xor_b64 s[24:25], exec, s[0:1]
	s_cbranch_execz .LBB0_51
; %bb.38:                               ;   in Loop: Header=BB0_5 Depth=1
	v_and_b32_e32 v9, 0x7fffffff, v6
	v_cmp_gt_u64_e32 vcc, s[22:23], v[9:10]
	v_and_b32_sdwa v5, v6, s39 dst_sel:DWORD dst_unused:UNUSED_PAD src0_sel:BYTE_3 src1_sel:DWORD
                                        ; implicit-def: $vgpr2_vgpr3
	s_and_saveexec_b64 s[0:1], vcc
	s_xor_b64 s[26:27], exec, s[0:1]
	s_cbranch_execz .LBB0_48
; %bb.39:                               ;   in Loop: Header=BB0_5 Depth=1
	v_mov_b32_e32 v2, 0
	v_cmp_ne_u32_e32 vcc, 0, v6
	v_mov_b32_e32 v3, 0
	s_and_saveexec_b64 s[28:29], vcc
	s_cbranch_execz .LBB0_47
; %bb.40:                               ;   in Loop: Header=BB0_5 Depth=1
	v_bfe_u32 v14, v6, 23, 8
	v_sub_u32_e64 v2, s40, v14 clamp
	v_cmp_eq_u32_e32 vcc, 0, v14
	v_and_b32_e32 v7, 0x7fffff, v6
	v_cndmask_b32_e32 v15, v2, v25, vcc
	v_or_b32_e32 v6, 0x800000, v7
	v_add_u32_e32 v2, 20, v15
	v_lshlrev_b64 v[2:3], v2, -1
	v_cndmask_b32_e32 v9, v6, v7, vcc
	v_add_u32_e32 v6, 19, v15
	v_lshlrev_b64 v[6:7], v6, 1
	v_bfi_b32 v3, v3, 0, 0
	v_bfi_b32 v2, v2, 0, v9
	v_cmp_eq_u64_e64 s[0:1], v[2:3], v[6:7]
	v_lshrrev_b64 v[2:3], v15, v[9:10]
	v_add_u32_e32 v3, 0xffffff88, v14
	v_and_b32_e32 v9, 0x100000, v2
	v_cndmask_b32_e32 v3, v3, v26, vcc
	v_cmp_eq_u64_e32 vcc, 0, v[9:10]
	v_lshrrev_b32_e32 v6, 23, v2
	s_and_b64 vcc, vcc, s[0:1]
	v_add3_u32 v6, v3, v15, v6
	v_subbrev_co_u32_e32 v3, vcc, 0, v2, vcc
	v_add_u32_e32 v7, -1, v6
	v_and_b32_e32 v3, 0xfffff, v3
	v_add_u32_e32 v9, v3, v2
	v_cmp_ne_u32_e32 vcc, 0, v7
                                        ; implicit-def: $vgpr2_vgpr3
                                        ; implicit-def: $vgpr14
	s_and_saveexec_b64 s[0:1], vcc
	s_xor_b64 s[0:1], exec, s[0:1]
; %bb.41:                               ;   in Loop: Header=BB0_5 Depth=1
	v_and_b32_e32 v14, 0x1000000, v9
	v_mov_b32_e32 v15, v10
	v_bfe_u32 v2, v9, 24, 1
	v_cmp_eq_u64_e32 vcc, 0, v[14:15]
	v_lshrrev_b64 v[2:3], v2, v[9:10]
	v_cndmask_b32_e32 v14, v6, v7, vcc
; %bb.42:                               ;   in Loop: Header=BB0_5 Depth=1
	s_andn2_saveexec_b64 s[0:1], s[0:1]
; %bb.43:                               ;   in Loop: Header=BB0_5 Depth=1
	v_mov_b32_e32 v2, v9
	v_bfe_u32 v14, v9, 23, 1
	v_mov_b32_e32 v3, v10
; %bb.44:                               ;   in Loop: Header=BB0_5 Depth=1
	s_or_b64 exec, exec, s[0:1]
	v_lshrrev_b64 v[2:3], 20, v[2:3]
	v_cmp_gt_i32_e32 vcc, 16, v14
	v_cndmask_b32_e32 v7, 0, v3, vcc
	v_cndmask_b32_e32 v6, 7, v2, vcc
	v_cmp_ne_u64_e32 vcc, 0, v[6:7]
	v_cmp_ne_u32_e64 s[0:1], 0, v14
	s_or_b64 s[0:1], s[0:1], vcc
	v_mov_b32_e32 v2, v5
	v_mov_b32_e32 v3, v6
	s_and_saveexec_b64 s[46:47], s[0:1]
	s_xor_b64 s[0:1], exec, s[46:47]
; %bb.45:                               ;   in Loop: Header=BB0_5 Depth=1
	v_min_i32_e32 v2, 15, v14
	v_lshl_or_b32 v2, v2, 3, v5
	v_and_or_b32 v2, v6, 7, v2
; %bb.46:                               ;   in Loop: Header=BB0_5 Depth=1
	s_andn2_saveexec_b64 s[0:1], s[0:1]
	s_or_b64 exec, exec, s[0:1]
.LBB0_47:                               ;   in Loop: Header=BB0_5 Depth=1
	s_or_b64 exec, exec, s[28:29]
                                        ; implicit-def: $vgpr5
.LBB0_48:                               ;   in Loop: Header=BB0_5 Depth=1
	s_andn2_saveexec_b64 s[0:1], s[26:27]
; %bb.49:                               ;   in Loop: Header=BB0_5 Depth=1
	v_or_b32_e32 v2, 0x7e, v5
; %bb.50:                               ;   in Loop: Header=BB0_5 Depth=1
	s_or_b64 exec, exec, s[0:1]
                                        ; implicit-def: $vgpr6
.LBB0_51:                               ;   in Loop: Header=BB0_5 Depth=1
	s_andn2_saveexec_b64 s[0:1], s[24:25]
; %bb.52:                               ;   in Loop: Header=BB0_5 Depth=1
	v_or_b32_sdwa v2, v6, s41 dst_sel:DWORD dst_unused:UNUSED_PAD src0_sel:BYTE_3 src1_sel:DWORD
; %bb.53:                               ;   in Loop: Header=BB0_5 Depth=1
	s_or_b64 exec, exec, s[0:1]
	v_mul_f32_e32 v3, 0xbfb8aa3b, v4
	v_rndne_f32_e32 v5, v3
	v_sub_f32_e32 v6, v3, v5
	v_fma_f32 v3, v4, s17, -v3
	v_fmac_f32_e32 v3, 0xb2a5705f, v4
	v_add_f32_e32 v3, v6, v3
	v_cvt_i32_f32_e32 v5, v5
	v_exp_f32_e32 v3, v3
	v_cmp_nlt_f32_e32 vcc, s37, v4
	v_ldexp_f32 v3, v3, v5
	v_cndmask_b32_e32 v3, 0, v3, vcc
	v_cmp_ngt_f32_e32 vcc, s38, v4
	v_cndmask_b32_e32 v3, v24, v3, vcc
	v_add_f32_e32 v3, 1.0, v3
	v_div_scale_f32 v5, s[0:1], v3, v3, v4
	v_div_scale_f32 v6, vcc, v4, v3, v4
	v_rcp_f32_e32 v7, v5
	v_fma_f32 v9, -v5, v7, 1.0
	v_fmac_f32_e32 v7, v9, v7
	v_mul_f32_e32 v9, v6, v7
	v_fma_f32 v14, -v5, v9, v6
	v_fmac_f32_e32 v9, v14, v7
	v_fma_f32 v5, -v5, v9, v6
	v_div_fmas_f32 v5, v5, v7, v9
	v_div_fixup_f32 v3, v5, v3, v4
	v_mul_f32_e32 v3, v8, v3
	v_mul_f32_e32 v3, v17, v3
	v_min_f32_e32 v3, 0x43e00000, v3
	v_max_f32_e32 v6, 0xc3e00000, v3
	v_and_b32_e32 v9, 0x7f800000, v6
	v_cmp_ne_u64_e32 vcc, s[20:21], v[9:10]
                                        ; implicit-def: $vgpr4_vgpr5
	s_and_saveexec_b64 s[0:1], vcc
	s_xor_b64 s[24:25], exec, s[0:1]
	s_cbranch_execz .LBB0_67
; %bb.54:                               ;   in Loop: Header=BB0_5 Depth=1
	v_and_b32_e32 v9, 0x7fffffff, v6
	v_cmp_gt_u64_e32 vcc, s[22:23], v[9:10]
	v_and_b32_sdwa v3, v6, s39 dst_sel:DWORD dst_unused:UNUSED_PAD src0_sel:BYTE_3 src1_sel:DWORD
                                        ; implicit-def: $vgpr4_vgpr5
	s_and_saveexec_b64 s[0:1], vcc
	s_xor_b64 s[26:27], exec, s[0:1]
	s_cbranch_execz .LBB0_64
; %bb.55:                               ;   in Loop: Header=BB0_5 Depth=1
	v_mov_b32_e32 v4, 0
	v_cmp_ne_u32_e32 vcc, 0, v6
	v_mov_b32_e32 v5, 0
	s_and_saveexec_b64 s[28:29], vcc
	s_cbranch_execz .LBB0_63
; %bb.56:                               ;   in Loop: Header=BB0_5 Depth=1
	v_bfe_u32 v8, v6, 23, 8
	v_sub_u32_e64 v4, s40, v8 clamp
	v_cmp_eq_u32_e32 vcc, 0, v8
	v_and_b32_e32 v7, 0x7fffff, v6
	v_cndmask_b32_e32 v14, v4, v25, vcc
	v_or_b32_e32 v6, 0x800000, v7
	v_add_u32_e32 v4, 20, v14
	v_lshlrev_b64 v[4:5], v4, -1
	v_cndmask_b32_e32 v9, v6, v7, vcc
	v_add_u32_e32 v6, 19, v14
	v_lshlrev_b64 v[6:7], v6, 1
	v_bfi_b32 v5, v5, 0, 0
	v_bfi_b32 v4, v4, 0, v9
	v_cmp_eq_u64_e64 s[0:1], v[4:5], v[6:7]
	v_lshrrev_b64 v[4:5], v14, v[9:10]
	v_add_u32_e32 v5, 0xffffff88, v8
	v_and_b32_e32 v9, 0x100000, v4
	v_cndmask_b32_e32 v5, v5, v26, vcc
	v_cmp_eq_u64_e32 vcc, 0, v[9:10]
	v_lshrrev_b32_e32 v6, 23, v4
	s_and_b64 vcc, vcc, s[0:1]
	v_add3_u32 v6, v5, v14, v6
	v_subbrev_co_u32_e32 v5, vcc, 0, v4, vcc
	v_add_u32_e32 v7, -1, v6
	v_and_b32_e32 v5, 0xfffff, v5
	v_add_u32_e32 v9, v5, v4
	v_cmp_ne_u32_e32 vcc, 0, v7
                                        ; implicit-def: $vgpr4_vgpr5
                                        ; implicit-def: $vgpr8
	s_and_saveexec_b64 s[0:1], vcc
	s_xor_b64 s[0:1], exec, s[0:1]
; %bb.57:                               ;   in Loop: Header=BB0_5 Depth=1
	v_and_b32_e32 v14, 0x1000000, v9
	v_mov_b32_e32 v15, v10
	v_bfe_u32 v4, v9, 24, 1
	v_cmp_eq_u64_e32 vcc, 0, v[14:15]
	v_lshrrev_b64 v[4:5], v4, v[9:10]
	v_cndmask_b32_e32 v8, v6, v7, vcc
; %bb.58:                               ;   in Loop: Header=BB0_5 Depth=1
	s_andn2_saveexec_b64 s[0:1], s[0:1]
; %bb.59:                               ;   in Loop: Header=BB0_5 Depth=1
	v_mov_b32_e32 v4, v9
	v_bfe_u32 v8, v9, 23, 1
	v_mov_b32_e32 v5, v10
; %bb.60:                               ;   in Loop: Header=BB0_5 Depth=1
	s_or_b64 exec, exec, s[0:1]
	v_lshrrev_b64 v[4:5], 20, v[4:5]
	v_cmp_gt_i32_e32 vcc, 16, v8
	v_cndmask_b32_e32 v7, 0, v5, vcc
	v_cndmask_b32_e32 v6, 7, v4, vcc
	v_cmp_ne_u64_e32 vcc, 0, v[6:7]
	v_cmp_ne_u32_e64 s[0:1], 0, v8
	v_mov_b32_e32 v5, v4
	s_or_b64 s[0:1], s[0:1], vcc
	v_mov_b32_e32 v4, v3
	s_and_saveexec_b64 s[46:47], s[0:1]
	s_xor_b64 s[0:1], exec, s[46:47]
; %bb.61:                               ;   in Loop: Header=BB0_5 Depth=1
	v_min_i32_e32 v4, 15, v8
	v_lshl_or_b32 v3, v4, 3, v3
	v_and_or_b32 v4, v6, 7, v3
; %bb.62:                               ;   in Loop: Header=BB0_5 Depth=1
	s_andn2_saveexec_b64 s[0:1], s[0:1]
	s_or_b64 exec, exec, s[0:1]
.LBB0_63:                               ;   in Loop: Header=BB0_5 Depth=1
	s_or_b64 exec, exec, s[28:29]
                                        ; implicit-def: $vgpr3
.LBB0_64:                               ;   in Loop: Header=BB0_5 Depth=1
	s_andn2_saveexec_b64 s[0:1], s[26:27]
; %bb.65:                               ;   in Loop: Header=BB0_5 Depth=1
	v_or_b32_e32 v4, 0x7e, v3
; %bb.66:                               ;   in Loop: Header=BB0_5 Depth=1
	s_or_b64 exec, exec, s[0:1]
                                        ; implicit-def: $vgpr6
.LBB0_67:                               ;   in Loop: Header=BB0_5 Depth=1
	s_andn2_saveexec_b64 s[0:1], s[24:25]
	s_cbranch_execz .LBB0_4
; %bb.68:                               ;   in Loop: Header=BB0_5 Depth=1
	v_or_b32_sdwa v4, v6, s41 dst_sel:DWORD dst_unused:UNUSED_PAD src0_sel:BYTE_3 src1_sel:DWORD
	s_branch .LBB0_4
.LBB0_69:
	s_or_b64 exec, exec, s[14:15]
	s_sub_i32 s0, 4, s3
	s_cmp_gt_i32 s2, s0
	s_cbranch_scc0 .LBB0_91
; %bb.70:
	v_add_u32_e32 v0, s0, v0
	v_cmp_gt_i32_e32 vcc, s2, v0
	s_and_saveexec_b64 s[0:1], vcc
	s_cbranch_execz .LBB0_91
; %bb.71:
	s_load_dword s0, s[12:13], 0xc
	s_add_u32 s18, s8, s4
	s_addc_u32 s19, s9, s5
	v_lshlrev_b32_e32 v2, 2, v0
	v_mov_b32_e32 v1, 0
	s_waitcnt lgkmcnt(0)
	s_and_b32 s20, s0, 0xffff
	s_lshl_b64 s[0:1], s[6:7], 3
	s_or_b32 s0, s0, 4
	s_mul_i32 s6, s0, s31
	s_mul_hi_u32 s7, s0, s30
	s_add_i32 s6, s7, s6
	s_mul_i32 s1, s1, s30
	v_mov_b32_e32 v3, s11
	v_add_co_u32_e32 v6, vcc, s10, v2
	s_add_i32 s1, s6, s1
	v_addc_co_u32_e32 v7, vcc, 0, v3, vcc
	s_lshl_b64 s[4:5], s[4:5], 3
	v_mov_b32_e32 v3, v1
	s_mov_b32 s3, 0
	s_mul_i32 s21, s0, s30
	s_lshl_b32 s22, s20, 2
	s_mov_b64 s[6:7], 0
	v_mov_b32_e32 v8, s5
	v_mov_b32_e32 v9, s1
	s_mov_b32 s5, 0xbfb8aa3b
	s_mov_b32 s23, 0x42ce8ed0
	;; [unrolled: 1-line block ×3, first 2 shown]
	v_mov_b32_e32 v10, 0x7f800000
	s_mov_b64 s[8:9], 0x7f800000
	s_movk_i32 s25, 0x80
	s_mov_b64 s[10:11], 0x43e00001
	s_movk_i32 s26, 0x79
	s_movk_i32 s27, 0x7f
	v_mov_b32_e32 v11, 0x78
	v_mov_b32_e32 v12, 0xffffff89
	;; [unrolled: 1-line block ×3, first 2 shown]
	s_branch .LBB0_73
.LBB0_72:                               ;   in Loop: Header=BB0_73 Depth=1
	s_or_b64 exec, exec, s[0:1]
	v_mov_b32_e32 v5, s19
	v_add_co_u32_e32 v4, vcc, s18, v2
	v_addc_co_u32_e32 v5, vcc, v5, v3, vcc
	v_add_co_u32_e32 v2, vcc, s20, v2
	v_addc_co_u32_e32 v3, vcc, 0, v3, vcc
	v_cmp_le_u64_e32 vcc, s[2:3], v[2:3]
	global_store_byte v[4:5], v0, off
	s_or_b64 s[6:7], vcc, s[6:7]
	v_add_co_u32_e32 v6, vcc, s22, v6
	v_addc_co_u32_e32 v7, vcc, 0, v7, vcc
	s_andn2_b64 exec, exec, s[6:7]
	s_cbranch_execz .LBB0_91
.LBB0_73:                               ; =>This Inner Loop Header: Depth=1
	v_add_co_u32_e32 v4, vcc, s4, v6
	v_addc_co_u32_e32 v5, vcc, v7, v8, vcc
	global_load_dword v0, v[4:5], off
	v_add_co_u32_e32 v4, vcc, s21, v6
	v_addc_co_u32_e32 v5, vcc, v7, v9, vcc
	global_load_dword v4, v[4:5], off
	s_waitcnt vmcnt(1)
	v_mul_f32_e32 v5, 0xbfb8aa3b, v0
	v_fma_f32 v13, v0, s5, -v5
	v_rndne_f32_e32 v14, v5
	v_fmac_f32_e32 v13, 0xb2a5705f, v0
	v_sub_f32_e32 v5, v5, v14
	v_add_f32_e32 v5, v5, v13
	v_cvt_i32_f32_e32 v14, v14
	v_exp_f32_e32 v5, v5
	v_cmp_nlt_f32_e32 vcc, s23, v0
	v_ldexp_f32 v5, v5, v14
	v_cndmask_b32_e32 v5, 0, v5, vcc
	v_cmp_ngt_f32_e32 vcc, s24, v0
	v_cndmask_b32_e32 v5, v10, v5, vcc
	v_add_f32_e32 v5, 1.0, v5
	v_div_scale_f32 v13, s[0:1], v5, v5, v0
	v_div_scale_f32 v14, vcc, v0, v5, v0
	v_rcp_f32_e32 v15, v13
	v_fma_f32 v16, -v13, v15, 1.0
	v_fmac_f32_e32 v15, v16, v15
	v_mul_f32_e32 v16, v14, v15
	v_fma_f32 v18, -v13, v16, v14
	v_fmac_f32_e32 v16, v18, v15
	v_fma_f32 v13, -v13, v16, v14
	v_div_fmas_f32 v13, v13, v15, v16
	v_div_fixup_f32 v0, v13, v5, v0
	s_waitcnt vmcnt(0)
	v_mul_f32_e32 v0, v4, v0
	v_mul_f32_e32 v0, v17, v0
	v_min_f32_e32 v0, 0x43e00000, v0
	v_max_f32_e32 v4, 0xc3e00000, v0
	v_and_b32_e32 v0, 0x7f800000, v4
	v_cmp_ne_u64_e32 vcc, s[8:9], v[0:1]
                                        ; implicit-def: $vgpr0
	s_and_saveexec_b64 s[0:1], vcc
	s_xor_b64 s[12:13], exec, s[0:1]
	s_cbranch_execz .LBB0_89
; %bb.74:                               ;   in Loop: Header=BB0_73 Depth=1
	v_and_b32_e32 v0, 0x7fffffff, v4
	v_cmp_gt_u64_e32 vcc, s[10:11], v[0:1]
	v_and_b32_sdwa v13, v4, s25 dst_sel:DWORD dst_unused:UNUSED_PAD src0_sel:BYTE_3 src1_sel:DWORD
                                        ; implicit-def: $vgpr0
	s_and_saveexec_b64 s[0:1], vcc
	s_xor_b64 s[14:15], exec, s[0:1]
	s_cbranch_execz .LBB0_86
; %bb.75:                               ;   in Loop: Header=BB0_73 Depth=1
	v_cmp_ne_u32_e32 vcc, 0, v4
	v_mov_b32_e32 v0, 0
	s_and_saveexec_b64 s[16:17], vcc
	s_cbranch_execz .LBB0_85
; %bb.76:                               ;   in Loop: Header=BB0_73 Depth=1
	v_bfe_u32 v16, v4, 23, 8
	v_and_b32_e32 v0, 0x7fffff, v4
	v_sub_u32_e64 v4, s26, v16 clamp
	v_cmp_eq_u32_e32 vcc, 0, v16
	v_cndmask_b32_e32 v18, v4, v11, vcc
	v_or_b32_e32 v14, 0x800000, v0
	v_add_u32_e32 v4, 20, v18
	v_lshlrev_b64 v[4:5], v4, -1
	v_cndmask_b32_e32 v0, v14, v0, vcc
	v_add_u32_e32 v14, 19, v18
	v_lshlrev_b64 v[14:15], v14, 1
	v_bfi_b32 v5, v5, 0, 0
	v_bfi_b32 v4, v4, 0, v0
	v_cmp_eq_u64_e64 s[0:1], v[4:5], v[14:15]
	v_lshrrev_b64 v[4:5], v18, v[0:1]
	v_add_u32_e32 v0, 0xffffff88, v16
	v_cndmask_b32_e32 v0, v0, v12, vcc
	v_lshrrev_b32_e32 v5, 23, v4
	v_add3_u32 v15, v0, v18, v5
	v_and_b32_e32 v0, 0x100000, v4
	v_cmp_eq_u64_e32 vcc, 0, v[0:1]
	v_add_u32_e32 v16, -1, v15
	s_and_b64 vcc, vcc, s[0:1]
	v_subbrev_co_u32_e32 v0, vcc, 0, v4, vcc
	v_and_b32_e32 v0, 0xfffff, v0
	v_add_u32_e32 v0, v0, v4
	v_cmp_ne_u32_e32 vcc, 0, v16
                                        ; implicit-def: $vgpr4_vgpr5
                                        ; implicit-def: $vgpr14
	s_and_saveexec_b64 s[0:1], vcc
	s_xor_b64 s[0:1], exec, s[0:1]
; %bb.77:                               ;   in Loop: Header=BB0_73 Depth=1
	v_and_b32_e32 v18, 0x1000000, v0
	v_mov_b32_e32 v19, v1
	v_cmp_eq_u64_e32 vcc, 0, v[18:19]
	v_bfe_u32 v4, v0, 24, 1
	v_lshrrev_b64 v[4:5], v4, v[0:1]
	v_cndmask_b32_e32 v14, v15, v16, vcc
; %bb.78:                               ;   in Loop: Header=BB0_73 Depth=1
	s_andn2_saveexec_b64 s[0:1], s[0:1]
; %bb.79:                               ;   in Loop: Header=BB0_73 Depth=1
	v_mov_b32_e32 v5, v1
	v_bfe_u32 v14, v0, 23, 1
	v_mov_b32_e32 v4, v0
; %bb.80:                               ;   in Loop: Header=BB0_73 Depth=1
	s_or_b64 exec, exec, s[0:1]
	v_lshrrev_b64 v[4:5], 20, v[4:5]
	v_cmp_gt_i32_e32 vcc, 16, v14
	v_cndmask_b32_e32 v5, 0, v5, vcc
	v_cndmask_b32_e32 v4, 7, v4, vcc
	v_cmp_ne_u64_e32 vcc, 0, v[4:5]
	v_cmp_ne_u32_e64 s[0:1], 0, v14
	s_or_b64 s[0:1], s[0:1], vcc
                                        ; implicit-def: $vgpr0
	s_and_saveexec_b64 s[28:29], s[0:1]
	s_xor_b64 s[0:1], exec, s[28:29]
; %bb.81:                               ;   in Loop: Header=BB0_73 Depth=1
	v_min_i32_e32 v0, 15, v14
	v_lshl_or_b32 v0, v0, 3, v13
	v_and_or_b32 v0, v4, 7, v0
                                        ; implicit-def: $vgpr13
; %bb.82:                               ;   in Loop: Header=BB0_73 Depth=1
	s_andn2_saveexec_b64 s[0:1], s[0:1]
; %bb.83:                               ;   in Loop: Header=BB0_73 Depth=1
	v_mov_b32_e32 v0, v13
; %bb.84:                               ;   in Loop: Header=BB0_73 Depth=1
	s_or_b64 exec, exec, s[0:1]
.LBB0_85:                               ;   in Loop: Header=BB0_73 Depth=1
	s_or_b64 exec, exec, s[16:17]
                                        ; implicit-def: $vgpr13
.LBB0_86:                               ;   in Loop: Header=BB0_73 Depth=1
	s_andn2_saveexec_b64 s[0:1], s[14:15]
; %bb.87:                               ;   in Loop: Header=BB0_73 Depth=1
	v_or_b32_e32 v0, 0x7e, v13
; %bb.88:                               ;   in Loop: Header=BB0_73 Depth=1
	s_or_b64 exec, exec, s[0:1]
                                        ; implicit-def: $vgpr4
.LBB0_89:                               ;   in Loop: Header=BB0_73 Depth=1
	s_andn2_saveexec_b64 s[0:1], s[12:13]
	s_cbranch_execz .LBB0_72
; %bb.90:                               ;   in Loop: Header=BB0_73 Depth=1
	v_or_b32_sdwa v0, v4, s27 dst_sel:DWORD dst_unused:UNUSED_PAD src0_sel:BYTE_3 src1_sel:DWORD
	s_branch .LBB0_72
.LBB0_91:
	s_endpgm
	.section	.rodata,"a",@progbits
	.p2align	6, 0x0
	.amdhsa_kernel _ZN4vllm24act_and_mul_quant_kernelIfTnPFT_RKS1_EXadL_ZNS_11silu_kernelIfEES1_S3_EEN3c1013Float8_e4m3fnEEEvPT1_PS2_PKfi
		.amdhsa_group_segment_fixed_size 0
		.amdhsa_private_segment_fixed_size 0
		.amdhsa_kernarg_size 288
		.amdhsa_user_sgpr_count 6
		.amdhsa_user_sgpr_private_segment_buffer 1
		.amdhsa_user_sgpr_dispatch_ptr 0
		.amdhsa_user_sgpr_queue_ptr 0
		.amdhsa_user_sgpr_kernarg_segment_ptr 1
		.amdhsa_user_sgpr_dispatch_id 0
		.amdhsa_user_sgpr_flat_scratch_init 0
		.amdhsa_user_sgpr_private_segment_size 0
		.amdhsa_uses_dynamic_stack 0
		.amdhsa_system_sgpr_private_segment_wavefront_offset 0
		.amdhsa_system_sgpr_workgroup_id_x 1
		.amdhsa_system_sgpr_workgroup_id_y 1
		.amdhsa_system_sgpr_workgroup_id_z 0
		.amdhsa_system_sgpr_workgroup_info 0
		.amdhsa_system_vgpr_workitem_id 0
		.amdhsa_next_free_vgpr 29
		.amdhsa_next_free_sgpr 48
		.amdhsa_reserve_vcc 1
		.amdhsa_reserve_flat_scratch 0
		.amdhsa_float_round_mode_32 0
		.amdhsa_float_round_mode_16_64 0
		.amdhsa_float_denorm_mode_32 3
		.amdhsa_float_denorm_mode_16_64 3
		.amdhsa_dx10_clamp 1
		.amdhsa_ieee_mode 1
		.amdhsa_fp16_overflow 0
		.amdhsa_exception_fp_ieee_invalid_op 0
		.amdhsa_exception_fp_denorm_src 0
		.amdhsa_exception_fp_ieee_div_zero 0
		.amdhsa_exception_fp_ieee_overflow 0
		.amdhsa_exception_fp_ieee_underflow 0
		.amdhsa_exception_fp_ieee_inexact 0
		.amdhsa_exception_int_div_zero 0
	.end_amdhsa_kernel
	.section	.text._ZN4vllm24act_and_mul_quant_kernelIfTnPFT_RKS1_EXadL_ZNS_11silu_kernelIfEES1_S3_EEN3c1013Float8_e4m3fnEEEvPT1_PS2_PKfi,"axG",@progbits,_ZN4vllm24act_and_mul_quant_kernelIfTnPFT_RKS1_EXadL_ZNS_11silu_kernelIfEES1_S3_EEN3c1013Float8_e4m3fnEEEvPT1_PS2_PKfi,comdat
.Lfunc_end0:
	.size	_ZN4vllm24act_and_mul_quant_kernelIfTnPFT_RKS1_EXadL_ZNS_11silu_kernelIfEES1_S3_EEN3c1013Float8_e4m3fnEEEvPT1_PS2_PKfi, .Lfunc_end0-_ZN4vllm24act_and_mul_quant_kernelIfTnPFT_RKS1_EXadL_ZNS_11silu_kernelIfEES1_S3_EEN3c1013Float8_e4m3fnEEEvPT1_PS2_PKfi
                                        ; -- End function
	.set _ZN4vllm24act_and_mul_quant_kernelIfTnPFT_RKS1_EXadL_ZNS_11silu_kernelIfEES1_S3_EEN3c1013Float8_e4m3fnEEEvPT1_PS2_PKfi.num_vgpr, 29
	.set _ZN4vllm24act_and_mul_quant_kernelIfTnPFT_RKS1_EXadL_ZNS_11silu_kernelIfEES1_S3_EEN3c1013Float8_e4m3fnEEEvPT1_PS2_PKfi.num_agpr, 0
	.set _ZN4vllm24act_and_mul_quant_kernelIfTnPFT_RKS1_EXadL_ZNS_11silu_kernelIfEES1_S3_EEN3c1013Float8_e4m3fnEEEvPT1_PS2_PKfi.numbered_sgpr, 48
	.set _ZN4vllm24act_and_mul_quant_kernelIfTnPFT_RKS1_EXadL_ZNS_11silu_kernelIfEES1_S3_EEN3c1013Float8_e4m3fnEEEvPT1_PS2_PKfi.num_named_barrier, 0
	.set _ZN4vllm24act_and_mul_quant_kernelIfTnPFT_RKS1_EXadL_ZNS_11silu_kernelIfEES1_S3_EEN3c1013Float8_e4m3fnEEEvPT1_PS2_PKfi.private_seg_size, 0
	.set _ZN4vllm24act_and_mul_quant_kernelIfTnPFT_RKS1_EXadL_ZNS_11silu_kernelIfEES1_S3_EEN3c1013Float8_e4m3fnEEEvPT1_PS2_PKfi.uses_vcc, 1
	.set _ZN4vllm24act_and_mul_quant_kernelIfTnPFT_RKS1_EXadL_ZNS_11silu_kernelIfEES1_S3_EEN3c1013Float8_e4m3fnEEEvPT1_PS2_PKfi.uses_flat_scratch, 0
	.set _ZN4vllm24act_and_mul_quant_kernelIfTnPFT_RKS1_EXadL_ZNS_11silu_kernelIfEES1_S3_EEN3c1013Float8_e4m3fnEEEvPT1_PS2_PKfi.has_dyn_sized_stack, 0
	.set _ZN4vllm24act_and_mul_quant_kernelIfTnPFT_RKS1_EXadL_ZNS_11silu_kernelIfEES1_S3_EEN3c1013Float8_e4m3fnEEEvPT1_PS2_PKfi.has_recursion, 0
	.set _ZN4vllm24act_and_mul_quant_kernelIfTnPFT_RKS1_EXadL_ZNS_11silu_kernelIfEES1_S3_EEN3c1013Float8_e4m3fnEEEvPT1_PS2_PKfi.has_indirect_call, 0
	.section	.AMDGPU.csdata,"",@progbits
; Kernel info:
; codeLenInByte = 4096
; TotalNumSgprs: 52
; NumVgprs: 29
; ScratchSize: 0
; MemoryBound: 0
; FloatMode: 240
; IeeeMode: 1
; LDSByteSize: 0 bytes/workgroup (compile time only)
; SGPRBlocks: 6
; VGPRBlocks: 7
; NumSGPRsForWavesPerEU: 52
; NumVGPRsForWavesPerEU: 29
; Occupancy: 8
; WaveLimiterHint : 0
; COMPUTE_PGM_RSRC2:SCRATCH_EN: 0
; COMPUTE_PGM_RSRC2:USER_SGPR: 6
; COMPUTE_PGM_RSRC2:TRAP_HANDLER: 0
; COMPUTE_PGM_RSRC2:TGID_X_EN: 1
; COMPUTE_PGM_RSRC2:TGID_Y_EN: 1
; COMPUTE_PGM_RSRC2:TGID_Z_EN: 0
; COMPUTE_PGM_RSRC2:TIDIG_COMP_CNT: 0
	.section	.text._ZN4vllm24act_and_mul_quant_kernelIfTnPFT_RKS1_EXadL_ZNS_11silu_kernelIfEES1_S3_EEN3c1015Float8_e4m3fnuzEEEvPT1_PS2_PKfi,"axG",@progbits,_ZN4vllm24act_and_mul_quant_kernelIfTnPFT_RKS1_EXadL_ZNS_11silu_kernelIfEES1_S3_EEN3c1015Float8_e4m3fnuzEEEvPT1_PS2_PKfi,comdat
	.protected	_ZN4vllm24act_and_mul_quant_kernelIfTnPFT_RKS1_EXadL_ZNS_11silu_kernelIfEES1_S3_EEN3c1015Float8_e4m3fnuzEEEvPT1_PS2_PKfi ; -- Begin function _ZN4vllm24act_and_mul_quant_kernelIfTnPFT_RKS1_EXadL_ZNS_11silu_kernelIfEES1_S3_EEN3c1015Float8_e4m3fnuzEEEvPT1_PS2_PKfi
	.globl	_ZN4vllm24act_and_mul_quant_kernelIfTnPFT_RKS1_EXadL_ZNS_11silu_kernelIfEES1_S3_EEN3c1015Float8_e4m3fnuzEEEvPT1_PS2_PKfi
	.p2align	8
	.type	_ZN4vllm24act_and_mul_quant_kernelIfTnPFT_RKS1_EXadL_ZNS_11silu_kernelIfEES1_S3_EEN3c1015Float8_e4m3fnuzEEEvPT1_PS2_PKfi,@function
_ZN4vllm24act_and_mul_quant_kernelIfTnPFT_RKS1_EXadL_ZNS_11silu_kernelIfEES1_S3_EEN3c1015Float8_e4m3fnuzEEEvPT1_PS2_PKfi: ; @_ZN4vllm24act_and_mul_quant_kernelIfTnPFT_RKS1_EXadL_ZNS_11silu_kernelIfEES1_S3_EEN3c1015Float8_e4m3fnuzEEEvPT1_PS2_PKfi
; %bb.0:
	s_load_dword s1, s[4:5], 0x24
	s_add_u32 s12, s4, 32
	s_addc_u32 s13, s5, 0
	s_load_dword s30, s[4:5], 0x18
	s_load_dwordx4 s[8:11], s[4:5], 0x0
	s_mov_b32 s0, s7
	s_waitcnt lgkmcnt(0)
	s_abs_i32 s2, s1
	v_cvt_f32_u32_e32 v1, s2
	s_sub_i32 s7, 0, s2
	s_add_i32 s3, s30, s1
	s_add_i32 s3, s3, -1
	v_rcp_iflag_f32_e32 v1, v1
	s_xor_b32 s1, s3, s1
	s_abs_i32 s3, s3
	s_ashr_i32 s1, s1, 31
	v_mul_f32_e32 v1, 0x4f7ffffe, v1
	v_cvt_u32_f32_e32 v1, v1
	v_readfirstlane_b32 s14, v1
	s_mul_i32 s7, s7, s14
	s_mul_hi_u32 s7, s14, s7
	s_add_i32 s14, s14, s7
	s_mul_hi_u32 s7, s3, s14
	s_mul_i32 s14, s7, s2
	s_sub_i32 s3, s3, s14
	s_add_i32 s14, s7, 1
	s_sub_i32 s15, s3, s2
	s_cmp_ge_u32 s3, s2
	s_cselect_b32 s7, s14, s7
	s_cselect_b32 s3, s15, s3
	s_add_i32 s14, s7, 1
	s_cmp_ge_u32 s3, s2
	s_cselect_b32 s2, s14, s7
	s_xor_b32 s2, s2, s1
	s_sub_i32 s1, s2, s1
	s_and_b32 s2, s1, 3
	s_cmp_eq_u32 s2, 0
	s_mov_b32 s7, 0
	s_cbranch_scc1 .LBB1_2
; %bb.1:
	s_ashr_i32 s2, s1, 31
	s_lshr_b32 s2, s2, 30
	s_add_i32 s1, s1, s2
	s_and_b32 s1, s1, -4
	s_add_i32 s1, s1, 4
.LBB1_2:
	s_load_dwordx2 s[2:3], s[4:5], 0x10
	s_mul_i32 s14, s1, s0
	s_add_i32 s0, s14, s1
	s_ashr_i32 s31, s30, 31
	s_mul_i32 s4, s30, s6
	s_waitcnt lgkmcnt(0)
	s_load_dword s15, s[2:3], 0x0
	s_min_i32 s2, s0, s30
	s_abs_i32 s3, s2
	v_cvt_f32_u32_e32 v1, s3
	s_waitcnt lgkmcnt(0)
	v_div_scale_f32 v2, s[0:1], s15, s15, 1.0
	v_div_scale_f32 v3, vcc, 1.0, s15, 1.0
	v_rcp_iflag_f32_e32 v1, v1
	s_mul_hi_u32 s0, s30, s6
	s_mul_i32 s1, s31, s6
	s_add_i32 s5, s0, s1
	v_mul_f32_e32 v1, 0x4f7ffffe, v1
	v_cvt_u32_f32_e32 v1, v1
	s_sub_i32 s0, 0, s3
	v_readfirstlane_b32 s1, v1
	s_mul_i32 s0, s0, s1
	s_mul_hi_u32 s0, s1, s0
	v_rcp_f32_e32 v1, v2
	s_add_i32 s1, s1, s0
	s_lshr_b32 s0, s1, 30
	s_mul_i32 s0, s0, s3
	v_fma_f32 v4, -v2, v1, 1.0
	v_fmac_f32_e32 v1, v4, v1
	v_mul_f32_e32 v4, v3, v1
	v_fma_f32 v5, -v2, v4, v3
	v_fmac_f32_e32 v4, v5, v1
	v_fma_f32 v2, -v2, v4, v3
	v_div_fmas_f32 v1, v2, v1, v4
	s_sub_i32 s0, 4, s0
	s_sub_i32 s1, s0, s3
	s_cmp_ge_u32 s0, s3
	s_cselect_b32 s0, s1, s0
	s_sub_i32 s1, s0, s3
	s_cmp_ge_u32 s0, s3
	s_cselect_b32 s3, s1, s0
	s_cmp_eq_u32 s3, 0
	s_cselect_b64 s[0:1], -1, 0
	v_cndmask_b32_e64 v18, 0, 1, s[0:1]
	s_ashr_i32 s0, s14, 31
	s_lshr_b32 s0, s0, 30
	s_add_i32 s14, s14, s0
	s_ashr_i32 s0, s14, 2
	v_add_u32_e32 v19, s0, v0
	v_div_fixup_f32 v17, v1, s15, 1.0
	v_cmp_lt_i32_e32 vcc, v19, v18
	s_and_saveexec_b64 s[14:15], vcc
	s_cbranch_execz .LBB1_53
; %bb.3:
	s_load_dword s1, s[12:13], 0xc
	s_ashr_i32 s18, s0, 31
	v_add_co_u32_e32 v1, vcc, s0, v0
	v_mov_b32_e32 v2, s18
	s_waitcnt lgkmcnt(0)
	s_and_b32 s33, s1, 0xffff
	s_lshl_b64 s[0:1], s[6:7], 3
	s_or_b32 s0, s0, 4
	v_addc_co_u32_e32 v2, vcc, 0, v2, vcc
	s_mul_i32 s18, s0, s31
	s_mul_hi_u32 s19, s0, s30
	v_lshlrev_b64 v[3:4], 4, v[1:2]
	s_add_i32 s18, s19, s18
	s_mul_i32 s1, s1, s30
	s_lshl_b64 s[16:17], s[4:5], 3
	s_lshl_b32 s34, s33, 4
	s_add_i32 s1, s18, s1
	v_mov_b32_e32 v5, s11
	v_add_co_u32_e32 v20, vcc, s10, v3
	s_mul_i32 s35, s0, s30
	v_lshlrev_b64 v[1:2], 3, v[1:2]
	s_add_u32 s0, s8, s4
	v_addc_co_u32_e32 v21, vcc, v5, v4, vcc
	s_addc_u32 s18, s9, s5
	v_mov_b32_e32 v3, s18
	v_add_co_u32_e32 v11, vcc, s0, v1
	v_mov_b32_e32 v10, 0
	v_addc_co_u32_e32 v12, vcc, v3, v2, vcc
	s_lshl_b32 s36, s33, 3
	s_mov_b64 s[18:19], 0
	v_mov_b32_e32 v22, s17
	v_mov_b32_e32 v23, s1
	s_mov_b32 s17, 0xbfb8aa3b
	s_mov_b32 s37, 0x42ce8ed0
	;; [unrolled: 1-line block ×3, first 2 shown]
	v_mov_b32_e32 v24, 0x7f800000
	s_mov_b64 s[20:21], 0x7f800000
	s_mov_b64 s[22:23], 0x43700001
	s_movk_i32 s39, 0x78
	s_movk_i32 s40, 0x80
	;; [unrolled: 1-line block ×3, first 2 shown]
	s_mov_b32 s42, 0x4020c0c
	s_mov_b32 s43, 0xff00
	s_movk_i32 s44, 0xff
	v_mov_b32_e32 v25, 0x77
	v_mov_b32_e32 v26, 0xffffff8a
	s_branch .LBB1_6
.LBB1_4:                                ;   in Loop: Header=BB1_6 Depth=1
	s_or_b64 exec, exec, s[0:1]
.LBB1_5:                                ;   in Loop: Header=BB1_6 Depth=1
	s_or_b64 exec, exec, s[24:25]
	v_lshlrev_b32_e32 v2, 16, v5
	v_perm_b32 v1, v1, v2, s42
	v_lshlrev_b32_e32 v2, 8, v13
	v_add_co_u32_e32 v20, vcc, s34, v20
	v_and_or_b32 v1, v2, s43, v1
	v_add_u32_e32 v19, s33, v19
	v_addc_co_u32_e32 v21, vcc, 0, v21, vcc
	v_and_or_b32 v9, v15, s44, v1
	v_cmp_ge_i32_e32 vcc, v19, v18
	global_store_dwordx2 v[11:12], v[9:10], off
	s_or_b64 s[18:19], vcc, s[18:19]
	v_add_co_u32_e32 v11, vcc, s36, v11
	v_addc_co_u32_e32 v12, vcc, 0, v12, vcc
	s_andn2_b64 exec, exec, s[18:19]
	s_cbranch_execz .LBB1_53
.LBB1_6:                                ; =>This Inner Loop Header: Depth=1
	v_add_co_u32_e32 v1, vcc, s16, v20
	v_addc_co_u32_e32 v2, vcc, v21, v22, vcc
	global_load_dwordx4 v[1:4], v[1:2], off
	v_add_co_u32_e32 v5, vcc, s35, v20
	v_addc_co_u32_e32 v6, vcc, v21, v23, vcc
	global_load_dwordx4 v[5:8], v[5:6], off
	s_waitcnt vmcnt(1)
	v_mul_f32_e32 v9, 0xbfb8aa3b, v1
	v_fma_f32 v13, v1, s17, -v9
	v_rndne_f32_e32 v14, v9
	v_fmac_f32_e32 v13, 0xb2a5705f, v1
	v_sub_f32_e32 v9, v9, v14
	v_add_f32_e32 v9, v9, v13
	v_cvt_i32_f32_e32 v14, v14
	v_exp_f32_e32 v9, v9
	v_cmp_nlt_f32_e32 vcc, s37, v1
	v_ldexp_f32 v9, v9, v14
	v_cndmask_b32_e32 v9, 0, v9, vcc
	v_cmp_ngt_f32_e32 vcc, s38, v1
	v_cndmask_b32_e32 v9, v24, v9, vcc
	v_add_f32_e32 v9, 1.0, v9
	v_div_scale_f32 v13, s[0:1], v9, v9, v1
	v_div_scale_f32 v14, vcc, v1, v9, v1
	v_rcp_f32_e32 v15, v13
	v_fma_f32 v16, -v13, v15, 1.0
	v_fmac_f32_e32 v15, v16, v15
	v_mul_f32_e32 v16, v14, v15
	v_fma_f32 v27, -v13, v16, v14
	v_fmac_f32_e32 v16, v27, v15
	v_fma_f32 v13, -v13, v16, v14
	v_div_fmas_f32 v15, v13, v15, v16
	v_mov_b32_e32 v13, 0x80
	v_mov_b32_e32 v14, 0
	v_div_fixup_f32 v1, v15, v9, v1
	s_waitcnt vmcnt(0)
	v_mul_f32_e32 v1, v5, v1
	v_mul_f32_e32 v1, v17, v1
	v_min_f32_e32 v1, 0x43600000, v1
	v_max_f32_e32 v1, 0xc3600000, v1
	v_and_b32_e32 v9, 0x7f800000, v1
	v_cmp_ne_u64_e32 vcc, s[20:21], v[9:10]
	v_mov_b32_e32 v15, 0x80
	v_mov_b32_e32 v16, 0
	s_and_saveexec_b64 s[24:25], vcc
	s_cbranch_execz .LBB1_18
; %bb.7:                                ;   in Loop: Header=BB1_6 Depth=1
	v_and_b32_e32 v9, 0x7fffffff, v1
	v_cmp_gt_u64_e32 vcc, s[22:23], v[9:10]
                                        ; implicit-def: $vgpr15_vgpr16
	s_and_saveexec_b64 s[0:1], vcc
	s_xor_b64 s[26:27], exec, s[0:1]
	s_cbranch_execz .LBB1_15
; %bb.8:                                ;   in Loop: Header=BB1_6 Depth=1
	v_mov_b32_e32 v15, 0
	v_cmp_ne_u32_e32 vcc, 0, v1
	v_mov_b32_e32 v16, 0
	s_and_saveexec_b64 s[28:29], vcc
	s_cbranch_execz .LBB1_14
; %bb.9:                                ;   in Loop: Header=BB1_6 Depth=1
	v_bfe_u32 v16, v1, 23, 8
	v_sub_u32_e64 v9, s39, v16 clamp
	v_cmp_eq_u32_e32 vcc, 0, v16
	v_and_b32_e32 v5, 0x7fffff, v1
	v_cndmask_b32_e32 v29, v9, v25, vcc
	v_or_b32_e32 v27, 0x800000, v5
	v_add_u32_e32 v9, 20, v29
	v_lshlrev_b64 v[14:15], v9, -1
	v_cndmask_b32_e32 v9, v27, v5, vcc
	v_add_u32_e32 v5, 19, v29
	v_lshlrev_b64 v[27:28], v5, 1
	v_bfi_b32 v15, v15, 0, 0
	v_bfi_b32 v14, v14, 0, v9
	v_cmp_eq_u64_e64 s[0:1], v[14:15], v[27:28]
	v_lshrrev_b64 v[14:15], v29, v[9:10]
	v_add_u32_e32 v5, 0xffffff89, v16
	v_cndmask_b32_e32 v5, v5, v26, vcc
	v_lshrrev_b32_e32 v9, 23, v14
	v_add3_u32 v16, v5, v29, v9
	v_and_b32_e32 v9, 0x100000, v14
	v_cmp_eq_u64_e32 vcc, 0, v[9:10]
	v_add_u32_e32 v27, -1, v16
	s_and_b64 vcc, vcc, s[0:1]
	v_subbrev_co_u32_e32 v5, vcc, 0, v14, vcc
	v_and_b32_e32 v5, 0xfffff, v5
	v_add_u32_e32 v9, v5, v14
	v_cmp_ne_u32_e32 vcc, 0, v27
                                        ; implicit-def: $vgpr14_vgpr15
                                        ; implicit-def: $vgpr5
	s_and_saveexec_b64 s[0:1], vcc
	s_xor_b64 s[0:1], exec, s[0:1]
; %bb.10:                               ;   in Loop: Header=BB1_6 Depth=1
	v_and_b32_e32 v28, 0x1000000, v9
	v_mov_b32_e32 v29, v10
	v_cmp_eq_u64_e32 vcc, 0, v[28:29]
	v_bfe_u32 v5, v9, 24, 1
	v_lshrrev_b64 v[14:15], v5, v[9:10]
	v_cndmask_b32_e32 v5, v16, v27, vcc
; %bb.11:                               ;   in Loop: Header=BB1_6 Depth=1
	s_andn2_saveexec_b64 s[0:1], s[0:1]
; %bb.12:                               ;   in Loop: Header=BB1_6 Depth=1
	v_mov_b32_e32 v15, v10
	v_bfe_u32 v5, v9, 23, 1
	v_mov_b32_e32 v14, v9
; %bb.13:                               ;   in Loop: Header=BB1_6 Depth=1
	s_or_b64 exec, exec, s[0:1]
	v_lshrrev_b64 v[14:15], 20, v[14:15]
	v_cmp_gt_i32_e32 vcc, 16, v5
	v_cndmask_b32_e32 v15, 0, v15, vcc
	v_cndmask_b32_e32 v14, 7, v14, vcc
	v_and_b32_sdwa v1, v1, s40 dst_sel:DWORD dst_unused:UNUSED_PAD src0_sel:BYTE_3 src1_sel:DWORD
	v_min_i32_e32 v9, 15, v5
	v_cmp_eq_u64_e64 s[0:1], 0, v[14:15]
	v_cmp_eq_u32_e32 vcc, 0, v5
	v_lshl_or_b32 v1, v9, 3, v1
	v_and_or_b32 v1, v14, 7, v1
	s_and_b64 s[0:1], vcc, s[0:1]
	v_cndmask_b32_e64 v15, v1, 0, s[0:1]
.LBB1_14:                               ;   in Loop: Header=BB1_6 Depth=1
	s_or_b64 exec, exec, s[28:29]
                                        ; implicit-def: $vgpr1
.LBB1_15:                               ;   in Loop: Header=BB1_6 Depth=1
	s_andn2_saveexec_b64 s[0:1], s[26:27]
; %bb.16:                               ;   in Loop: Header=BB1_6 Depth=1
	v_or_b32_sdwa v15, v1, s41 dst_sel:DWORD dst_unused:UNUSED_PAD src0_sel:BYTE_3 src1_sel:DWORD
; %bb.17:                               ;   in Loop: Header=BB1_6 Depth=1
	s_or_b64 exec, exec, s[0:1]
.LBB1_18:                               ;   in Loop: Header=BB1_6 Depth=1
	s_or_b64 exec, exec, s[24:25]
	v_mul_f32_e32 v1, 0xbfb8aa3b, v2
	v_rndne_f32_e32 v5, v1
	v_sub_f32_e32 v9, v1, v5
	v_fma_f32 v1, v2, s17, -v1
	v_fmac_f32_e32 v1, 0xb2a5705f, v2
	v_add_f32_e32 v1, v9, v1
	v_cvt_i32_f32_e32 v5, v5
	v_exp_f32_e32 v1, v1
	v_cmp_nlt_f32_e32 vcc, s37, v2
	v_ldexp_f32 v1, v1, v5
	v_cndmask_b32_e32 v1, 0, v1, vcc
	v_cmp_ngt_f32_e32 vcc, s38, v2
	v_cndmask_b32_e32 v1, v24, v1, vcc
	v_add_f32_e32 v1, 1.0, v1
	v_div_scale_f32 v5, s[0:1], v1, v1, v2
	v_div_scale_f32 v9, vcc, v2, v1, v2
	v_rcp_f32_e32 v14, v5
	v_fma_f32 v16, -v5, v14, 1.0
	v_fmac_f32_e32 v14, v16, v14
	v_mul_f32_e32 v16, v9, v14
	v_fma_f32 v27, -v5, v16, v9
	v_fmac_f32_e32 v16, v27, v14
	v_fma_f32 v5, -v5, v16, v9
	v_div_fmas_f32 v5, v5, v14, v16
	v_div_fixup_f32 v1, v5, v1, v2
	v_mul_f32_e32 v1, v6, v1
	v_mul_f32_e32 v1, v17, v1
	v_min_f32_e32 v1, 0x43600000, v1
	v_max_f32_e32 v5, 0xc3600000, v1
	v_and_b32_e32 v9, 0x7f800000, v5
	v_cmp_ne_u64_e32 vcc, s[20:21], v[9:10]
	s_and_saveexec_b64 s[24:25], vcc
	s_cbranch_execz .LBB1_30
; %bb.19:                               ;   in Loop: Header=BB1_6 Depth=1
	v_and_b32_e32 v9, 0x7fffffff, v5
	v_cmp_gt_u64_e32 vcc, s[22:23], v[9:10]
                                        ; implicit-def: $vgpr13_vgpr14
	s_and_saveexec_b64 s[0:1], vcc
	s_xor_b64 s[26:27], exec, s[0:1]
	s_cbranch_execz .LBB1_27
; %bb.20:                               ;   in Loop: Header=BB1_6 Depth=1
	v_mov_b32_e32 v13, 0
	v_cmp_ne_u32_e32 vcc, 0, v5
	v_mov_b32_e32 v14, 0
	s_and_saveexec_b64 s[28:29], vcc
	s_cbranch_execz .LBB1_26
; %bb.21:                               ;   in Loop: Header=BB1_6 Depth=1
	v_bfe_u32 v16, v5, 23, 8
	v_sub_u32_e64 v1, s39, v16 clamp
	v_cmp_eq_u32_e32 vcc, 0, v16
	v_and_b32_e32 v6, 0x7fffff, v5
	v_cndmask_b32_e32 v27, v1, v25, vcc
	v_or_b32_e32 v9, 0x800000, v6
	v_add_u32_e32 v1, 20, v27
	v_lshlrev_b64 v[1:2], v1, -1
	v_cndmask_b32_e32 v9, v9, v6, vcc
	v_add_u32_e32 v6, 19, v27
	v_lshlrev_b64 v[13:14], v6, 1
	v_bfi_b32 v2, v2, 0, 0
	v_bfi_b32 v1, v1, 0, v9
	v_cmp_eq_u64_e64 s[0:1], v[1:2], v[13:14]
	v_lshrrev_b64 v[1:2], v27, v[9:10]
	v_add_u32_e32 v2, 0xffffff89, v16
	v_and_b32_e32 v9, 0x100000, v1
	v_cndmask_b32_e32 v2, v2, v26, vcc
	v_cmp_eq_u64_e32 vcc, 0, v[9:10]
	v_lshrrev_b32_e32 v6, 23, v1
	s_and_b64 vcc, vcc, s[0:1]
	v_add3_u32 v13, v2, v27, v6
	v_subbrev_co_u32_e32 v2, vcc, 0, v1, vcc
	v_add_u32_e32 v14, -1, v13
	v_and_b32_e32 v2, 0xfffff, v2
	v_add_u32_e32 v9, v2, v1
	v_cmp_ne_u32_e32 vcc, 0, v14
                                        ; implicit-def: $vgpr1_vgpr2
                                        ; implicit-def: $vgpr6
	s_and_saveexec_b64 s[0:1], vcc
	s_xor_b64 s[0:1], exec, s[0:1]
; %bb.22:                               ;   in Loop: Header=BB1_6 Depth=1
	v_and_b32_e32 v27, 0x1000000, v9
	v_mov_b32_e32 v28, v10
	v_bfe_u32 v1, v9, 24, 1
	v_cmp_eq_u64_e32 vcc, 0, v[27:28]
	v_lshrrev_b64 v[1:2], v1, v[9:10]
	v_cndmask_b32_e32 v6, v13, v14, vcc
; %bb.23:                               ;   in Loop: Header=BB1_6 Depth=1
	s_andn2_saveexec_b64 s[0:1], s[0:1]
; %bb.24:                               ;   in Loop: Header=BB1_6 Depth=1
	v_mov_b32_e32 v1, v9
	v_bfe_u32 v6, v9, 23, 1
	v_mov_b32_e32 v2, v10
; %bb.25:                               ;   in Loop: Header=BB1_6 Depth=1
	s_or_b64 exec, exec, s[0:1]
	v_lshrrev_b64 v[1:2], 20, v[1:2]
	v_cmp_gt_i32_e32 vcc, 16, v6
	v_cndmask_b32_e32 v2, 0, v2, vcc
	v_cndmask_b32_e32 v1, 7, v1, vcc
	v_and_b32_sdwa v5, v5, s40 dst_sel:DWORD dst_unused:UNUSED_PAD src0_sel:BYTE_3 src1_sel:DWORD
	v_min_i32_e32 v9, 15, v6
	v_cmp_eq_u64_e64 s[0:1], 0, v[1:2]
	v_cmp_eq_u32_e32 vcc, 0, v6
	v_lshl_or_b32 v2, v9, 3, v5
	v_and_or_b32 v1, v1, 7, v2
	s_and_b64 s[0:1], vcc, s[0:1]
	v_cndmask_b32_e64 v13, v1, 0, s[0:1]
.LBB1_26:                               ;   in Loop: Header=BB1_6 Depth=1
	s_or_b64 exec, exec, s[28:29]
                                        ; implicit-def: $vgpr5
.LBB1_27:                               ;   in Loop: Header=BB1_6 Depth=1
	s_andn2_saveexec_b64 s[0:1], s[26:27]
; %bb.28:                               ;   in Loop: Header=BB1_6 Depth=1
	v_or_b32_sdwa v13, v5, s41 dst_sel:DWORD dst_unused:UNUSED_PAD src0_sel:BYTE_3 src1_sel:DWORD
; %bb.29:                               ;   in Loop: Header=BB1_6 Depth=1
	s_or_b64 exec, exec, s[0:1]
.LBB1_30:                               ;   in Loop: Header=BB1_6 Depth=1
	s_or_b64 exec, exec, s[24:25]
	v_mul_f32_e32 v1, 0xbfb8aa3b, v3
	v_rndne_f32_e32 v2, v1
	v_sub_f32_e32 v5, v1, v2
	v_fma_f32 v1, v3, s17, -v1
	v_fmac_f32_e32 v1, 0xb2a5705f, v3
	v_add_f32_e32 v1, v5, v1
	v_cvt_i32_f32_e32 v2, v2
	v_exp_f32_e32 v1, v1
	v_cmp_nlt_f32_e32 vcc, s37, v3
	v_ldexp_f32 v1, v1, v2
	v_cndmask_b32_e32 v1, 0, v1, vcc
	v_cmp_ngt_f32_e32 vcc, s38, v3
	v_cndmask_b32_e32 v1, v24, v1, vcc
	v_add_f32_e32 v5, 1.0, v1
	v_div_scale_f32 v1, s[0:1], v5, v5, v3
	v_div_scale_f32 v2, vcc, v3, v5, v3
	v_rcp_f32_e32 v6, v1
	v_fma_f32 v9, -v1, v6, 1.0
	v_fmac_f32_e32 v6, v9, v6
	v_mul_f32_e32 v9, v2, v6
	v_fma_f32 v14, -v1, v9, v2
	v_fmac_f32_e32 v9, v14, v6
	v_fma_f32 v1, -v1, v9, v2
	v_div_fmas_f32 v6, v1, v6, v9
	v_mov_b32_e32 v1, 0x80
	v_mov_b32_e32 v2, 0
	v_div_fixup_f32 v2, v6, v5, v3
	v_mul_f32_e32 v2, v7, v2
	v_mul_f32_e32 v2, v17, v2
	v_min_f32_e32 v2, 0x43600000, v2
	v_max_f32_e32 v7, 0xc3600000, v2
	v_and_b32_e32 v9, 0x7f800000, v7
	v_cmp_ne_u64_e32 vcc, s[20:21], v[9:10]
	v_mov_b32_e32 v5, 0x80
	v_mov_b32_e32 v6, 0
	s_and_saveexec_b64 s[24:25], vcc
	s_cbranch_execz .LBB1_42
; %bb.31:                               ;   in Loop: Header=BB1_6 Depth=1
	v_and_b32_e32 v9, 0x7fffffff, v7
	v_cmp_gt_u64_e32 vcc, s[22:23], v[9:10]
                                        ; implicit-def: $vgpr5_vgpr6
	s_and_saveexec_b64 s[0:1], vcc
	s_xor_b64 s[26:27], exec, s[0:1]
	s_cbranch_execz .LBB1_39
; %bb.32:                               ;   in Loop: Header=BB1_6 Depth=1
	v_mov_b32_e32 v5, 0
	v_cmp_ne_u32_e32 vcc, 0, v7
	v_mov_b32_e32 v6, 0
	s_and_saveexec_b64 s[28:29], vcc
	s_cbranch_execz .LBB1_38
; %bb.33:                               ;   in Loop: Header=BB1_6 Depth=1
	v_bfe_u32 v14, v7, 23, 8
	v_sub_u32_e64 v2, s39, v14 clamp
	v_cmp_eq_u32_e32 vcc, 0, v14
	v_and_b32_e32 v5, 0x7fffff, v7
	v_cndmask_b32_e32 v16, v2, v25, vcc
	v_or_b32_e32 v6, 0x800000, v5
	v_add_u32_e32 v2, 20, v16
	v_lshlrev_b64 v[2:3], v2, -1
	v_cndmask_b32_e32 v9, v6, v5, vcc
	v_add_u32_e32 v5, 19, v16
	v_lshlrev_b64 v[5:6], v5, 1
	v_bfi_b32 v3, v3, 0, 0
	v_bfi_b32 v2, v2, 0, v9
	v_cmp_eq_u64_e64 s[0:1], v[2:3], v[5:6]
	v_lshrrev_b64 v[2:3], v16, v[9:10]
	v_add_u32_e32 v3, 0xffffff89, v14
	v_and_b32_e32 v9, 0x100000, v2
	v_cndmask_b32_e32 v3, v3, v26, vcc
	v_cmp_eq_u64_e32 vcc, 0, v[9:10]
	v_lshrrev_b32_e32 v5, 23, v2
	s_and_b64 vcc, vcc, s[0:1]
	v_add3_u32 v6, v3, v16, v5
	v_subbrev_co_u32_e32 v3, vcc, 0, v2, vcc
	v_add_u32_e32 v14, -1, v6
	v_and_b32_e32 v3, 0xfffff, v3
	v_add_u32_e32 v9, v3, v2
	v_cmp_ne_u32_e32 vcc, 0, v14
                                        ; implicit-def: $vgpr2_vgpr3
                                        ; implicit-def: $vgpr5
	s_and_saveexec_b64 s[0:1], vcc
	s_xor_b64 s[0:1], exec, s[0:1]
; %bb.34:                               ;   in Loop: Header=BB1_6 Depth=1
	v_and_b32_e32 v27, 0x1000000, v9
	v_mov_b32_e32 v28, v10
	v_bfe_u32 v2, v9, 24, 1
	v_cmp_eq_u64_e32 vcc, 0, v[27:28]
	v_lshrrev_b64 v[2:3], v2, v[9:10]
	v_cndmask_b32_e32 v5, v6, v14, vcc
; %bb.35:                               ;   in Loop: Header=BB1_6 Depth=1
	s_andn2_saveexec_b64 s[0:1], s[0:1]
; %bb.36:                               ;   in Loop: Header=BB1_6 Depth=1
	v_mov_b32_e32 v2, v9
	v_bfe_u32 v5, v9, 23, 1
	v_mov_b32_e32 v3, v10
; %bb.37:                               ;   in Loop: Header=BB1_6 Depth=1
	s_or_b64 exec, exec, s[0:1]
	v_lshrrev_b64 v[2:3], 20, v[2:3]
	v_cmp_gt_i32_e32 vcc, 16, v5
	v_cndmask_b32_e32 v3, 0, v3, vcc
	v_cndmask_b32_e32 v2, 7, v2, vcc
	v_and_b32_sdwa v6, v7, s40 dst_sel:DWORD dst_unused:UNUSED_PAD src0_sel:BYTE_3 src1_sel:DWORD
	v_min_i32_e32 v7, 15, v5
	v_cmp_eq_u64_e64 s[0:1], 0, v[2:3]
	v_cmp_eq_u32_e32 vcc, 0, v5
	v_lshl_or_b32 v3, v7, 3, v6
	v_and_or_b32 v2, v2, 7, v3
	s_and_b64 s[0:1], vcc, s[0:1]
	v_cndmask_b32_e64 v5, v2, 0, s[0:1]
.LBB1_38:                               ;   in Loop: Header=BB1_6 Depth=1
	s_or_b64 exec, exec, s[28:29]
                                        ; implicit-def: $vgpr7
.LBB1_39:                               ;   in Loop: Header=BB1_6 Depth=1
	s_andn2_saveexec_b64 s[0:1], s[26:27]
; %bb.40:                               ;   in Loop: Header=BB1_6 Depth=1
	v_or_b32_sdwa v5, v7, s41 dst_sel:DWORD dst_unused:UNUSED_PAD src0_sel:BYTE_3 src1_sel:DWORD
; %bb.41:                               ;   in Loop: Header=BB1_6 Depth=1
	s_or_b64 exec, exec, s[0:1]
.LBB1_42:                               ;   in Loop: Header=BB1_6 Depth=1
	s_or_b64 exec, exec, s[24:25]
	v_mul_f32_e32 v2, 0xbfb8aa3b, v4
	v_rndne_f32_e32 v3, v2
	v_sub_f32_e32 v6, v2, v3
	v_fma_f32 v2, v4, s17, -v2
	v_fmac_f32_e32 v2, 0xb2a5705f, v4
	v_add_f32_e32 v2, v6, v2
	v_cvt_i32_f32_e32 v3, v3
	v_exp_f32_e32 v2, v2
	v_cmp_nlt_f32_e32 vcc, s37, v4
	v_ldexp_f32 v2, v2, v3
	v_cndmask_b32_e32 v2, 0, v2, vcc
	v_cmp_ngt_f32_e32 vcc, s38, v4
	v_cndmask_b32_e32 v2, v24, v2, vcc
	v_add_f32_e32 v2, 1.0, v2
	v_div_scale_f32 v3, s[0:1], v2, v2, v4
	v_div_scale_f32 v6, vcc, v4, v2, v4
	v_rcp_f32_e32 v7, v3
	v_fma_f32 v9, -v3, v7, 1.0
	v_fmac_f32_e32 v7, v9, v7
	v_mul_f32_e32 v9, v6, v7
	v_fma_f32 v14, -v3, v9, v6
	v_fmac_f32_e32 v9, v14, v7
	v_fma_f32 v3, -v3, v9, v6
	v_div_fmas_f32 v3, v3, v7, v9
	v_div_fixup_f32 v2, v3, v2, v4
	v_mul_f32_e32 v2, v8, v2
	v_mul_f32_e32 v2, v17, v2
	v_min_f32_e32 v2, 0x43600000, v2
	v_max_f32_e32 v3, 0xc3600000, v2
	v_and_b32_e32 v9, 0x7f800000, v3
	v_cmp_ne_u64_e32 vcc, s[20:21], v[9:10]
	s_and_saveexec_b64 s[24:25], vcc
	s_cbranch_execz .LBB1_5
; %bb.43:                               ;   in Loop: Header=BB1_6 Depth=1
	v_and_b32_e32 v9, 0x7fffffff, v3
	v_cmp_gt_u64_e32 vcc, s[22:23], v[9:10]
                                        ; implicit-def: $vgpr1_vgpr2
	s_and_saveexec_b64 s[0:1], vcc
	s_xor_b64 s[26:27], exec, s[0:1]
	s_cbranch_execz .LBB1_51
; %bb.44:                               ;   in Loop: Header=BB1_6 Depth=1
	v_mov_b32_e32 v1, 0
	v_cmp_ne_u32_e32 vcc, 0, v3
	v_mov_b32_e32 v2, 0
	s_and_saveexec_b64 s[28:29], vcc
	s_cbranch_execz .LBB1_50
; %bb.45:                               ;   in Loop: Header=BB1_6 Depth=1
	v_bfe_u32 v8, v3, 23, 8
	v_sub_u32_e64 v1, s39, v8 clamp
	v_cmp_eq_u32_e32 vcc, 0, v8
	v_and_b32_e32 v4, 0x7fffff, v3
	v_cndmask_b32_e32 v14, v1, v25, vcc
	v_or_b32_e32 v6, 0x800000, v4
	v_add_u32_e32 v1, 20, v14
	v_lshlrev_b64 v[1:2], v1, -1
	v_cndmask_b32_e32 v9, v6, v4, vcc
	v_add_u32_e32 v4, 19, v14
	v_lshlrev_b64 v[6:7], v4, 1
	v_bfi_b32 v2, v2, 0, 0
	v_bfi_b32 v1, v1, 0, v9
	v_cmp_eq_u64_e64 s[0:1], v[1:2], v[6:7]
	v_lshrrev_b64 v[1:2], v14, v[9:10]
	v_add_u32_e32 v2, 0xffffff89, v8
	v_and_b32_e32 v9, 0x100000, v1
	v_cndmask_b32_e32 v2, v2, v26, vcc
	v_cmp_eq_u64_e32 vcc, 0, v[9:10]
	v_lshrrev_b32_e32 v4, 23, v1
	s_and_b64 vcc, vcc, s[0:1]
	v_add3_u32 v6, v2, v14, v4
	v_subbrev_co_u32_e32 v2, vcc, 0, v1, vcc
	v_add_u32_e32 v7, -1, v6
	v_and_b32_e32 v2, 0xfffff, v2
	v_add_u32_e32 v9, v2, v1
	v_cmp_ne_u32_e32 vcc, 0, v7
                                        ; implicit-def: $vgpr1_vgpr2
                                        ; implicit-def: $vgpr4
	s_and_saveexec_b64 s[0:1], vcc
	s_xor_b64 s[0:1], exec, s[0:1]
; %bb.46:                               ;   in Loop: Header=BB1_6 Depth=1
	v_and_b32_e32 v27, 0x1000000, v9
	v_mov_b32_e32 v28, v10
	v_bfe_u32 v1, v9, 24, 1
	v_cmp_eq_u64_e32 vcc, 0, v[27:28]
	v_lshrrev_b64 v[1:2], v1, v[9:10]
	v_cndmask_b32_e32 v4, v6, v7, vcc
; %bb.47:                               ;   in Loop: Header=BB1_6 Depth=1
	s_andn2_saveexec_b64 s[0:1], s[0:1]
; %bb.48:                               ;   in Loop: Header=BB1_6 Depth=1
	v_mov_b32_e32 v1, v9
	v_bfe_u32 v4, v9, 23, 1
	v_mov_b32_e32 v2, v10
; %bb.49:                               ;   in Loop: Header=BB1_6 Depth=1
	s_or_b64 exec, exec, s[0:1]
	v_lshrrev_b64 v[1:2], 20, v[1:2]
	v_cmp_gt_i32_e32 vcc, 16, v4
	v_cndmask_b32_e32 v2, 0, v2, vcc
	v_cndmask_b32_e32 v1, 7, v1, vcc
	v_and_b32_sdwa v3, v3, s40 dst_sel:DWORD dst_unused:UNUSED_PAD src0_sel:BYTE_3 src1_sel:DWORD
	v_min_i32_e32 v6, 15, v4
	v_cmp_eq_u64_e64 s[0:1], 0, v[1:2]
	v_cmp_eq_u32_e32 vcc, 0, v4
	v_lshl_or_b32 v2, v6, 3, v3
	v_and_or_b32 v1, v1, 7, v2
	s_and_b64 s[0:1], vcc, s[0:1]
	v_cndmask_b32_e64 v1, v1, 0, s[0:1]
.LBB1_50:                               ;   in Loop: Header=BB1_6 Depth=1
	s_or_b64 exec, exec, s[28:29]
                                        ; implicit-def: $vgpr3
.LBB1_51:                               ;   in Loop: Header=BB1_6 Depth=1
	s_andn2_saveexec_b64 s[0:1], s[26:27]
	s_cbranch_execz .LBB1_4
; %bb.52:                               ;   in Loop: Header=BB1_6 Depth=1
	v_or_b32_sdwa v1, v3, s41 dst_sel:DWORD dst_unused:UNUSED_PAD src0_sel:BYTE_3 src1_sel:DWORD
	s_branch .LBB1_4
.LBB1_53:
	s_or_b64 exec, exec, s[14:15]
	s_sub_i32 s0, 4, s3
	s_cmp_gt_i32 s2, s0
	s_cbranch_scc0 .LBB1_69
; %bb.54:
	v_add_u32_e32 v0, s0, v0
	v_cmp_gt_i32_e32 vcc, s2, v0
	s_and_saveexec_b64 s[0:1], vcc
	s_cbranch_execz .LBB1_69
; %bb.55:
	s_load_dword s0, s[12:13], 0xc
	s_add_u32 s18, s8, s4
	s_addc_u32 s19, s9, s5
	v_lshlrev_b32_e32 v2, 2, v0
	v_mov_b32_e32 v1, 0
	s_waitcnt lgkmcnt(0)
	s_and_b32 s20, s0, 0xffff
	s_lshl_b64 s[0:1], s[6:7], 3
	s_or_b32 s0, s0, 4
	s_mul_i32 s6, s0, s31
	s_mul_hi_u32 s7, s0, s30
	s_add_i32 s6, s7, s6
	s_mul_i32 s1, s1, s30
	v_mov_b32_e32 v3, s11
	v_add_co_u32_e32 v6, vcc, s10, v2
	s_add_i32 s1, s6, s1
	v_addc_co_u32_e32 v7, vcc, 0, v3, vcc
	s_lshl_b64 s[4:5], s[4:5], 3
	v_mov_b32_e32 v3, v1
	s_mov_b32 s3, 0
	s_mul_i32 s21, s0, s30
	s_lshl_b32 s22, s20, 2
	s_mov_b64 s[6:7], 0
	v_mov_b32_e32 v8, s5
	v_mov_b32_e32 v9, s1
	s_mov_b32 s5, 0xbfb8aa3b
	s_mov_b32 s23, 0x42ce8ed0
	;; [unrolled: 1-line block ×3, first 2 shown]
	v_mov_b32_e32 v10, 0x7f800000
	s_mov_b64 s[8:9], 0x7f800000
	s_mov_b64 s[10:11], 0x43700001
	s_movk_i32 s25, 0x78
	s_movk_i32 s26, 0x80
	s_movk_i32 s27, 0x7f
	v_mov_b32_e32 v11, 0x77
	v_mov_b32_e32 v12, 0xffffff8a
	;; [unrolled: 1-line block ×3, first 2 shown]
	s_branch .LBB1_58
.LBB1_56:                               ;   in Loop: Header=BB1_58 Depth=1
	s_or_b64 exec, exec, s[0:1]
.LBB1_57:                               ;   in Loop: Header=BB1_58 Depth=1
	s_or_b64 exec, exec, s[12:13]
	v_mov_b32_e32 v5, s19
	v_add_co_u32_e32 v4, vcc, s18, v2
	v_addc_co_u32_e32 v5, vcc, v5, v3, vcc
	v_add_co_u32_e32 v2, vcc, s20, v2
	v_addc_co_u32_e32 v3, vcc, 0, v3, vcc
	v_cmp_le_u64_e32 vcc, s[2:3], v[2:3]
	global_store_byte v[4:5], v0, off
	s_or_b64 s[6:7], vcc, s[6:7]
	v_add_co_u32_e32 v6, vcc, s22, v6
	v_addc_co_u32_e32 v7, vcc, 0, v7, vcc
	s_andn2_b64 exec, exec, s[6:7]
	s_cbranch_execz .LBB1_69
.LBB1_58:                               ; =>This Inner Loop Header: Depth=1
	v_add_co_u32_e32 v4, vcc, s4, v6
	v_addc_co_u32_e32 v5, vcc, v7, v8, vcc
	global_load_dword v0, v[4:5], off
	v_add_co_u32_e32 v4, vcc, s21, v6
	v_addc_co_u32_e32 v5, vcc, v7, v9, vcc
	global_load_dword v4, v[4:5], off
	s_waitcnt vmcnt(1)
	v_mul_f32_e32 v5, 0xbfb8aa3b, v0
	v_fma_f32 v13, v0, s5, -v5
	v_rndne_f32_e32 v14, v5
	v_fmac_f32_e32 v13, 0xb2a5705f, v0
	v_sub_f32_e32 v5, v5, v14
	v_add_f32_e32 v5, v5, v13
	v_cvt_i32_f32_e32 v14, v14
	v_exp_f32_e32 v5, v5
	v_cmp_nlt_f32_e32 vcc, s23, v0
	v_ldexp_f32 v5, v5, v14
	v_cndmask_b32_e32 v5, 0, v5, vcc
	v_cmp_ngt_f32_e32 vcc, s24, v0
	v_cndmask_b32_e32 v5, v10, v5, vcc
	v_add_f32_e32 v5, 1.0, v5
	v_div_scale_f32 v13, s[0:1], v5, v5, v0
	v_div_scale_f32 v14, vcc, v0, v5, v0
	v_rcp_f32_e32 v15, v13
	v_fma_f32 v16, -v13, v15, 1.0
	v_fmac_f32_e32 v15, v16, v15
	v_mul_f32_e32 v16, v14, v15
	v_fma_f32 v18, -v13, v16, v14
	v_fmac_f32_e32 v16, v18, v15
	v_fma_f32 v13, -v13, v16, v14
	v_div_fmas_f32 v13, v13, v15, v16
	v_div_fixup_f32 v0, v13, v5, v0
	s_waitcnt vmcnt(0)
	v_mul_f32_e32 v0, v4, v0
	v_mul_f32_e32 v0, v17, v0
	v_min_f32_e32 v0, 0x43600000, v0
	v_max_f32_e32 v13, 0xc3600000, v0
	v_and_b32_e32 v0, 0x7f800000, v13
	v_cmp_ne_u64_e32 vcc, s[8:9], v[0:1]
	v_mov_b32_e32 v0, 0x80
	s_and_saveexec_b64 s[12:13], vcc
	s_cbranch_execz .LBB1_57
; %bb.59:                               ;   in Loop: Header=BB1_58 Depth=1
	v_and_b32_e32 v0, 0x7fffffff, v13
	v_cmp_gt_u64_e32 vcc, s[10:11], v[0:1]
                                        ; implicit-def: $vgpr0
	s_and_saveexec_b64 s[0:1], vcc
	s_xor_b64 s[14:15], exec, s[0:1]
	s_cbranch_execz .LBB1_67
; %bb.60:                               ;   in Loop: Header=BB1_58 Depth=1
	v_cmp_ne_u32_e32 vcc, 0, v13
	v_mov_b32_e32 v0, 0
	s_and_saveexec_b64 s[16:17], vcc
	s_cbranch_execz .LBB1_66
; %bb.61:                               ;   in Loop: Header=BB1_58 Depth=1
	v_bfe_u32 v16, v13, 23, 8
	v_sub_u32_e64 v4, s25, v16 clamp
	v_cmp_eq_u32_e32 vcc, 0, v16
	v_and_b32_e32 v0, 0x7fffff, v13
	v_cndmask_b32_e32 v18, v4, v11, vcc
	v_or_b32_e32 v14, 0x800000, v0
	v_add_u32_e32 v4, 20, v18
	v_lshlrev_b64 v[4:5], v4, -1
	v_cndmask_b32_e32 v0, v14, v0, vcc
	v_add_u32_e32 v14, 19, v18
	v_lshlrev_b64 v[14:15], v14, 1
	v_bfi_b32 v5, v5, 0, 0
	v_bfi_b32 v4, v4, 0, v0
	v_cmp_eq_u64_e64 s[0:1], v[4:5], v[14:15]
	v_lshrrev_b64 v[4:5], v18, v[0:1]
	v_add_u32_e32 v0, 0xffffff89, v16
	v_cndmask_b32_e32 v0, v0, v12, vcc
	v_lshrrev_b32_e32 v5, 23, v4
	v_add3_u32 v15, v0, v18, v5
	v_and_b32_e32 v0, 0x100000, v4
	v_cmp_eq_u64_e32 vcc, 0, v[0:1]
	v_add_u32_e32 v16, -1, v15
	s_and_b64 vcc, vcc, s[0:1]
	v_subbrev_co_u32_e32 v0, vcc, 0, v4, vcc
	v_and_b32_e32 v0, 0xfffff, v0
	v_add_u32_e32 v0, v0, v4
	v_cmp_ne_u32_e32 vcc, 0, v16
                                        ; implicit-def: $vgpr4_vgpr5
                                        ; implicit-def: $vgpr14
	s_and_saveexec_b64 s[0:1], vcc
	s_xor_b64 s[0:1], exec, s[0:1]
; %bb.62:                               ;   in Loop: Header=BB1_58 Depth=1
	v_and_b32_e32 v18, 0x1000000, v0
	v_mov_b32_e32 v19, v1
	v_cmp_eq_u64_e32 vcc, 0, v[18:19]
	v_bfe_u32 v4, v0, 24, 1
	v_lshrrev_b64 v[4:5], v4, v[0:1]
	v_cndmask_b32_e32 v14, v15, v16, vcc
; %bb.63:                               ;   in Loop: Header=BB1_58 Depth=1
	s_andn2_saveexec_b64 s[0:1], s[0:1]
; %bb.64:                               ;   in Loop: Header=BB1_58 Depth=1
	v_mov_b32_e32 v5, v1
	v_bfe_u32 v14, v0, 23, 1
	v_mov_b32_e32 v4, v0
; %bb.65:                               ;   in Loop: Header=BB1_58 Depth=1
	s_or_b64 exec, exec, s[0:1]
	v_lshrrev_b64 v[4:5], 20, v[4:5]
	v_cmp_gt_i32_e32 vcc, 16, v14
	v_cndmask_b32_e32 v5, 0, v5, vcc
	v_cndmask_b32_e32 v4, 7, v4, vcc
	v_and_b32_sdwa v0, v13, s26 dst_sel:DWORD dst_unused:UNUSED_PAD src0_sel:BYTE_3 src1_sel:DWORD
	v_min_i32_e32 v13, 15, v14
	v_cmp_eq_u64_e64 s[0:1], 0, v[4:5]
	v_cmp_eq_u32_e32 vcc, 0, v14
	v_lshl_or_b32 v0, v13, 3, v0
	v_and_or_b32 v0, v4, 7, v0
	s_and_b64 s[0:1], vcc, s[0:1]
	v_cndmask_b32_e64 v0, v0, 0, s[0:1]
.LBB1_66:                               ;   in Loop: Header=BB1_58 Depth=1
	s_or_b64 exec, exec, s[16:17]
                                        ; implicit-def: $vgpr13
.LBB1_67:                               ;   in Loop: Header=BB1_58 Depth=1
	s_andn2_saveexec_b64 s[0:1], s[14:15]
	s_cbranch_execz .LBB1_56
; %bb.68:                               ;   in Loop: Header=BB1_58 Depth=1
	v_or_b32_sdwa v0, v13, s27 dst_sel:DWORD dst_unused:UNUSED_PAD src0_sel:BYTE_3 src1_sel:DWORD
	s_branch .LBB1_56
.LBB1_69:
	s_endpgm
	.section	.rodata,"a",@progbits
	.p2align	6, 0x0
	.amdhsa_kernel _ZN4vllm24act_and_mul_quant_kernelIfTnPFT_RKS1_EXadL_ZNS_11silu_kernelIfEES1_S3_EEN3c1015Float8_e4m3fnuzEEEvPT1_PS2_PKfi
		.amdhsa_group_segment_fixed_size 0
		.amdhsa_private_segment_fixed_size 0
		.amdhsa_kernarg_size 288
		.amdhsa_user_sgpr_count 6
		.amdhsa_user_sgpr_private_segment_buffer 1
		.amdhsa_user_sgpr_dispatch_ptr 0
		.amdhsa_user_sgpr_queue_ptr 0
		.amdhsa_user_sgpr_kernarg_segment_ptr 1
		.amdhsa_user_sgpr_dispatch_id 0
		.amdhsa_user_sgpr_flat_scratch_init 0
		.amdhsa_user_sgpr_private_segment_size 0
		.amdhsa_uses_dynamic_stack 0
		.amdhsa_system_sgpr_private_segment_wavefront_offset 0
		.amdhsa_system_sgpr_workgroup_id_x 1
		.amdhsa_system_sgpr_workgroup_id_y 1
		.amdhsa_system_sgpr_workgroup_id_z 0
		.amdhsa_system_sgpr_workgroup_info 0
		.amdhsa_system_vgpr_workitem_id 0
		.amdhsa_next_free_vgpr 30
		.amdhsa_next_free_sgpr 45
		.amdhsa_reserve_vcc 1
		.amdhsa_reserve_flat_scratch 0
		.amdhsa_float_round_mode_32 0
		.amdhsa_float_round_mode_16_64 0
		.amdhsa_float_denorm_mode_32 3
		.amdhsa_float_denorm_mode_16_64 3
		.amdhsa_dx10_clamp 1
		.amdhsa_ieee_mode 1
		.amdhsa_fp16_overflow 0
		.amdhsa_exception_fp_ieee_invalid_op 0
		.amdhsa_exception_fp_denorm_src 0
		.amdhsa_exception_fp_ieee_div_zero 0
		.amdhsa_exception_fp_ieee_overflow 0
		.amdhsa_exception_fp_ieee_underflow 0
		.amdhsa_exception_fp_ieee_inexact 0
		.amdhsa_exception_int_div_zero 0
	.end_amdhsa_kernel
	.section	.text._ZN4vllm24act_and_mul_quant_kernelIfTnPFT_RKS1_EXadL_ZNS_11silu_kernelIfEES1_S3_EEN3c1015Float8_e4m3fnuzEEEvPT1_PS2_PKfi,"axG",@progbits,_ZN4vllm24act_and_mul_quant_kernelIfTnPFT_RKS1_EXadL_ZNS_11silu_kernelIfEES1_S3_EEN3c1015Float8_e4m3fnuzEEEvPT1_PS2_PKfi,comdat
.Lfunc_end1:
	.size	_ZN4vllm24act_and_mul_quant_kernelIfTnPFT_RKS1_EXadL_ZNS_11silu_kernelIfEES1_S3_EEN3c1015Float8_e4m3fnuzEEEvPT1_PS2_PKfi, .Lfunc_end1-_ZN4vllm24act_and_mul_quant_kernelIfTnPFT_RKS1_EXadL_ZNS_11silu_kernelIfEES1_S3_EEN3c1015Float8_e4m3fnuzEEEvPT1_PS2_PKfi
                                        ; -- End function
	.set _ZN4vllm24act_and_mul_quant_kernelIfTnPFT_RKS1_EXadL_ZNS_11silu_kernelIfEES1_S3_EEN3c1015Float8_e4m3fnuzEEEvPT1_PS2_PKfi.num_vgpr, 30
	.set _ZN4vllm24act_and_mul_quant_kernelIfTnPFT_RKS1_EXadL_ZNS_11silu_kernelIfEES1_S3_EEN3c1015Float8_e4m3fnuzEEEvPT1_PS2_PKfi.num_agpr, 0
	.set _ZN4vllm24act_and_mul_quant_kernelIfTnPFT_RKS1_EXadL_ZNS_11silu_kernelIfEES1_S3_EEN3c1015Float8_e4m3fnuzEEEvPT1_PS2_PKfi.numbered_sgpr, 45
	.set _ZN4vllm24act_and_mul_quant_kernelIfTnPFT_RKS1_EXadL_ZNS_11silu_kernelIfEES1_S3_EEN3c1015Float8_e4m3fnuzEEEvPT1_PS2_PKfi.num_named_barrier, 0
	.set _ZN4vllm24act_and_mul_quant_kernelIfTnPFT_RKS1_EXadL_ZNS_11silu_kernelIfEES1_S3_EEN3c1015Float8_e4m3fnuzEEEvPT1_PS2_PKfi.private_seg_size, 0
	.set _ZN4vllm24act_and_mul_quant_kernelIfTnPFT_RKS1_EXadL_ZNS_11silu_kernelIfEES1_S3_EEN3c1015Float8_e4m3fnuzEEEvPT1_PS2_PKfi.uses_vcc, 1
	.set _ZN4vllm24act_and_mul_quant_kernelIfTnPFT_RKS1_EXadL_ZNS_11silu_kernelIfEES1_S3_EEN3c1015Float8_e4m3fnuzEEEvPT1_PS2_PKfi.uses_flat_scratch, 0
	.set _ZN4vllm24act_and_mul_quant_kernelIfTnPFT_RKS1_EXadL_ZNS_11silu_kernelIfEES1_S3_EEN3c1015Float8_e4m3fnuzEEEvPT1_PS2_PKfi.has_dyn_sized_stack, 0
	.set _ZN4vllm24act_and_mul_quant_kernelIfTnPFT_RKS1_EXadL_ZNS_11silu_kernelIfEES1_S3_EEN3c1015Float8_e4m3fnuzEEEvPT1_PS2_PKfi.has_recursion, 0
	.set _ZN4vllm24act_and_mul_quant_kernelIfTnPFT_RKS1_EXadL_ZNS_11silu_kernelIfEES1_S3_EEN3c1015Float8_e4m3fnuzEEEvPT1_PS2_PKfi.has_indirect_call, 0
	.section	.AMDGPU.csdata,"",@progbits
; Kernel info:
; codeLenInByte = 3996
; TotalNumSgprs: 49
; NumVgprs: 30
; ScratchSize: 0
; MemoryBound: 0
; FloatMode: 240
; IeeeMode: 1
; LDSByteSize: 0 bytes/workgroup (compile time only)
; SGPRBlocks: 6
; VGPRBlocks: 7
; NumSGPRsForWavesPerEU: 49
; NumVGPRsForWavesPerEU: 30
; Occupancy: 8
; WaveLimiterHint : 0
; COMPUTE_PGM_RSRC2:SCRATCH_EN: 0
; COMPUTE_PGM_RSRC2:USER_SGPR: 6
; COMPUTE_PGM_RSRC2:TRAP_HANDLER: 0
; COMPUTE_PGM_RSRC2:TGID_X_EN: 1
; COMPUTE_PGM_RSRC2:TGID_Y_EN: 1
; COMPUTE_PGM_RSRC2:TGID_Z_EN: 0
; COMPUTE_PGM_RSRC2:TIDIG_COMP_CNT: 0
	.section	.text._ZN4vllm24act_and_mul_quant_kernelIN3c104HalfETnPFT_RKS3_EXadL_ZNS_11silu_kernelIS2_EES3_S5_EENS1_13Float8_e4m3fnEEEvPT1_PS4_PKfi,"axG",@progbits,_ZN4vllm24act_and_mul_quant_kernelIN3c104HalfETnPFT_RKS3_EXadL_ZNS_11silu_kernelIS2_EES3_S5_EENS1_13Float8_e4m3fnEEEvPT1_PS4_PKfi,comdat
	.protected	_ZN4vllm24act_and_mul_quant_kernelIN3c104HalfETnPFT_RKS3_EXadL_ZNS_11silu_kernelIS2_EES3_S5_EENS1_13Float8_e4m3fnEEEvPT1_PS4_PKfi ; -- Begin function _ZN4vllm24act_and_mul_quant_kernelIN3c104HalfETnPFT_RKS3_EXadL_ZNS_11silu_kernelIS2_EES3_S5_EENS1_13Float8_e4m3fnEEEvPT1_PS4_PKfi
	.globl	_ZN4vllm24act_and_mul_quant_kernelIN3c104HalfETnPFT_RKS3_EXadL_ZNS_11silu_kernelIS2_EES3_S5_EENS1_13Float8_e4m3fnEEEvPT1_PS4_PKfi
	.p2align	8
	.type	_ZN4vllm24act_and_mul_quant_kernelIN3c104HalfETnPFT_RKS3_EXadL_ZNS_11silu_kernelIS2_EES3_S5_EENS1_13Float8_e4m3fnEEEvPT1_PS4_PKfi,@function
_ZN4vllm24act_and_mul_quant_kernelIN3c104HalfETnPFT_RKS3_EXadL_ZNS_11silu_kernelIS2_EES3_S5_EENS1_13Float8_e4m3fnEEEvPT1_PS4_PKfi: ; @_ZN4vllm24act_and_mul_quant_kernelIN3c104HalfETnPFT_RKS3_EXadL_ZNS_11silu_kernelIS2_EES3_S5_EENS1_13Float8_e4m3fnEEEvPT1_PS4_PKfi
; %bb.0:
	s_load_dword s1, s[4:5], 0x24
	s_add_u32 s2, s4, 32
	s_mov_b32 s0, s7
	s_addc_u32 s3, s5, 0
	s_load_dword s22, s[4:5], 0x18
	s_load_dwordx4 s[28:31], s[4:5], 0x0
	s_waitcnt lgkmcnt(0)
	s_abs_i32 s7, s1
	v_cvt_f32_u32_e32 v1, s7
	s_sub_i32 s9, 0, s7
	s_add_i32 s8, s22, s1
	s_add_i32 s8, s8, -1
	v_rcp_iflag_f32_e32 v1, v1
	s_xor_b32 s1, s8, s1
	s_abs_i32 s8, s8
	s_ashr_i32 s1, s1, 31
	v_mul_f32_e32 v1, 0x4f7ffffe, v1
	v_cvt_u32_f32_e32 v1, v1
	v_readfirstlane_b32 s10, v1
	s_mul_i32 s9, s9, s10
	s_mul_hi_u32 s9, s10, s9
	s_add_i32 s10, s10, s9
	s_mul_hi_u32 s9, s8, s10
	s_mul_i32 s10, s9, s7
	s_sub_i32 s8, s8, s10
	s_add_i32 s10, s9, 1
	s_sub_i32 s11, s8, s7
	s_cmp_ge_u32 s8, s7
	s_cselect_b32 s9, s10, s9
	s_cselect_b32 s8, s11, s8
	s_add_i32 s10, s9, 1
	s_cmp_ge_u32 s8, s7
	s_cselect_b32 s7, s10, s9
	s_xor_b32 s7, s7, s1
	s_sub_i32 s1, s7, s1
	s_and_b32 s7, s1, 7
	s_cmp_eq_u32 s7, 0
	s_mov_b32 s7, 0
	s_cbranch_scc1 .LBB2_2
; %bb.1:
	s_ashr_i32 s8, s1, 31
	s_lshr_b32 s8, s8, 29
	s_add_i32 s1, s1, s8
	s_and_b32 s1, s1, -8
	s_add_i32 s1, s1, 8
.LBB2_2:
	s_load_dwordx2 s[4:5], s[4:5], 0x10
	s_mul_i32 s8, s1, s0
	s_add_i32 s0, s8, s1
	s_min_i32 s26, s0, s22
	s_ashr_i32 s23, s22, 31
	s_waitcnt lgkmcnt(0)
	s_load_dword s4, s[4:5], 0x0
	s_abs_i32 s5, s26
	v_cvt_f32_u32_e32 v1, s5
	s_mul_i32 s34, s22, s6
	s_waitcnt lgkmcnt(0)
	v_div_scale_f32 v2, s[0:1], s4, s4, 1.0
	v_div_scale_f32 v3, vcc, 1.0, s4, 1.0
	v_rcp_iflag_f32_e32 v1, v1
	s_mul_hi_u32 s0, s22, s6
	s_mul_i32 s1, s23, s6
	s_add_i32 s35, s0, s1
	v_mul_f32_e32 v1, 0x4f7ffffe, v1
	v_cvt_u32_f32_e32 v1, v1
	s_sub_i32 s0, 0, s5
	v_readfirstlane_b32 s1, v1
	s_mul_i32 s0, s0, s1
	s_mul_hi_u32 s0, s1, s0
	v_rcp_f32_e32 v1, v2
	s_add_i32 s1, s1, s0
	s_lshr_b32 s0, s1, 29
	s_mul_i32 s0, s0, s5
	v_fma_f32 v4, -v2, v1, 1.0
	v_fmac_f32_e32 v1, v4, v1
	v_mul_f32_e32 v4, v3, v1
	v_fma_f32 v5, -v2, v4, v3
	v_fmac_f32_e32 v4, v5, v1
	v_fma_f32 v2, -v2, v4, v3
	v_div_fmas_f32 v1, v2, v1, v4
	s_sub_i32 s0, 8, s0
	s_sub_i32 s1, s0, s5
	s_cmp_ge_u32 s0, s5
	s_cselect_b32 s0, s1, s0
	s_sub_i32 s1, s0, s5
	s_cmp_ge_u32 s0, s5
	s_cselect_b32 s24, s1, s0
	s_cmp_eq_u32 s24, 0
	s_cselect_b64 s[0:1], -1, 0
	v_cndmask_b32_e64 v19, 0, 1, s[0:1]
	s_ashr_i32 s0, s8, 31
	s_lshr_b32 s0, s0, 29
	s_add_i32 s8, s8, s0
	s_ashr_i32 s0, s8, 3
	v_add_u32_e32 v21, s0, v0
	v_div_fixup_f32 v20, v1, s4, 1.0
	v_cmp_lt_i32_e32 vcc, v21, v19
	s_and_saveexec_b64 s[4:5], vcc
	s_cbranch_execz .LBB2_133
; %bb.3:
	s_load_dword s1, s[2:3], 0xc
	s_ashr_i32 s10, s0, 31
	v_add_co_u32_e32 v1, vcc, s0, v0
	v_mov_b32_e32 v2, s10
	s_waitcnt lgkmcnt(0)
	s_and_b32 s25, s1, 0xffff
	s_lshl_b64 s[0:1], s[6:7], 2
	s_or_b32 s0, s0, 2
	v_addc_co_u32_e32 v2, vcc, 0, v2, vcc
	s_mul_i32 s10, s0, s23
	s_mul_hi_u32 s11, s0, s22
	v_lshlrev_b64 v[3:4], 4, v[1:2]
	s_add_i32 s10, s11, s10
	s_mul_i32 s1, s1, s22
	s_lshl_b64 s[8:9], s[34:35], 2
	s_lshl_b32 s27, s25, 4
	s_add_i32 s1, s10, s1
	v_mov_b32_e32 v5, s31
	v_add_co_u32_e32 v22, vcc, s30, v3
	s_mul_i32 s33, s0, s22
	v_lshlrev_b64 v[1:2], 3, v[1:2]
	s_add_u32 s0, s28, s34
	v_addc_co_u32_e32 v23, vcc, v5, v4, vcc
	s_addc_u32 s10, s29, s35
	v_mov_b32_e32 v3, s10
	v_add_co_u32_e32 v11, vcc, s0, v1
	v_mov_b32_e32 v10, 0
	v_addc_co_u32_e32 v12, vcc, v3, v2, vcc
	s_lshl_b32 s36, s25, 3
	s_mov_b64 s[10:11], 0
	v_mov_b32_e32 v24, s9
	v_mov_b32_e32 v25, s1
	s_mov_b32 s9, 0x3fb8aa3b
	s_mov_b32 s37, 0x32a5705f
	s_mov_b32 s38, 0xc2ce8ed0
	s_mov_b32 s39, 0x42b17218
	v_mov_b32_e32 v26, 0x7f800000
	s_mov_b64 s[12:13], 0x7f800000
	s_movk_i32 s40, 0x80
	s_mov_b64 s[14:15], 0x43e00001
	s_movk_i32 s41, 0x79
	s_movk_i32 s42, 0x7f
	s_mov_b32 s43, 0xff00
	s_mov_b32 s44, 0x4020c0c
	v_mov_b32_e32 v27, 0x78
	v_mov_b32_e32 v28, 0xffffff89
	s_branch .LBB2_5
.LBB2_4:                                ;   in Loop: Header=BB2_5 Depth=1
	s_or_b64 exec, exec, s[0:1]
	v_lshlrev_b32_e32 v4, 16, v6
	v_lshlrev_b32_e32 v3, 24, v7
	v_and_b32_e32 v4, 0xff0000, v4
	v_lshlrev_b32_e32 v2, 8, v2
	v_or_b32_e32 v3, v3, v4
	v_and_b32_e32 v2, 0xff00, v2
	v_and_b32_e32 v4, 0xff, v5
	v_or3_b32 v2, v3, v2, v4
	v_lshlrev_b32_e32 v3, 16, v15
	v_lshlrev_b32_e32 v4, 8, v14
	v_perm_b32 v1, v1, v3, s44
	v_add_co_u32_e32 v22, vcc, s27, v22
	v_and_or_b32 v1, v4, s43, v1
	v_add_u32_e32 v21, s25, v21
	v_addc_co_u32_e32 v23, vcc, 0, v23, vcc
	v_or_b32_sdwa v1, v1, v13 dst_sel:DWORD dst_unused:UNUSED_PAD src0_sel:DWORD src1_sel:BYTE_0
	v_cmp_ge_i32_e32 vcc, v21, v19
	global_store_dwordx2 v[11:12], v[1:2], off
	s_or_b64 s[10:11], vcc, s[10:11]
	v_add_co_u32_e32 v11, vcc, s36, v11
	v_addc_co_u32_e32 v12, vcc, 0, v12, vcc
	s_andn2_b64 exec, exec, s[10:11]
	s_cbranch_execz .LBB2_133
.LBB2_5:                                ; =>This Inner Loop Header: Depth=1
	v_add_co_u32_e32 v1, vcc, s8, v22
	v_addc_co_u32_e32 v2, vcc, v23, v24, vcc
	global_load_dwordx4 v[5:8], v[1:2], off
	v_add_co_u32_e32 v1, vcc, s33, v22
	v_addc_co_u32_e32 v2, vcc, v23, v25, vcc
	global_load_dwordx4 v[1:4], v[1:2], off
	s_waitcnt vmcnt(1)
	v_cvt_f32_f16_e64 v9, -v5
	v_mul_f32_e32 v13, 0x3fb8aa3b, v9
	v_fma_mix_f32 v14, -v5, s9, -v13 op_sel_hi:[1,0,0]
	v_rndne_f32_e32 v15, v13
	v_fma_mix_f32 v14, -v5, s37, v14 op_sel_hi:[1,0,0]
	v_sub_f32_e32 v13, v13, v15
	v_add_f32_e32 v13, v13, v14
	v_cvt_i32_f32_e32 v15, v15
	v_exp_f32_e32 v13, v13
	v_cvt_f32_f16_e32 v14, v5
	v_cmp_ngt_f32_e32 vcc, s38, v9
	v_ldexp_f32 v13, v13, v15
	v_cndmask_b32_e32 v13, 0, v13, vcc
	v_cmp_nlt_f32_e32 vcc, s39, v9
	v_cndmask_b32_e32 v9, v26, v13, vcc
	v_add_f32_e32 v9, 1.0, v9
	v_div_scale_f32 v13, s[0:1], v9, v9, v14
	v_div_scale_f32 v15, vcc, v14, v9, v14
	v_rcp_f32_e32 v16, v13
	v_fma_f32 v17, -v13, v16, 1.0
	v_fmac_f32_e32 v16, v17, v16
	v_mul_f32_e32 v17, v15, v16
	v_fma_f32 v18, -v13, v17, v15
	v_fmac_f32_e32 v17, v18, v16
	v_fma_f32 v13, -v13, v17, v15
	v_div_fmas_f32 v13, v13, v16, v17
	v_div_fixup_f32 v9, v13, v9, v14
	v_cvt_f16_f32_e32 v9, v9
                                        ; implicit-def: $vgpr13_vgpr14
	s_waitcnt vmcnt(0)
	v_mul_f16_e32 v9, v1, v9
	v_cvt_f32_f16_e32 v9, v9
	v_mul_f32_e32 v9, v20, v9
	v_min_f32_e32 v9, 0x43e00000, v9
	v_max_f32_e32 v16, 0xc3e00000, v9
	v_and_b32_e32 v9, 0x7f800000, v16
	v_cmp_ne_u64_e32 vcc, s[12:13], v[9:10]
	s_and_saveexec_b64 s[0:1], vcc
	s_xor_b64 s[16:17], exec, s[0:1]
	s_cbranch_execz .LBB2_19
; %bb.6:                                ;   in Loop: Header=BB2_5 Depth=1
	v_and_b32_e32 v9, 0x7fffffff, v16
	v_cmp_gt_u64_e32 vcc, s[14:15], v[9:10]
	v_and_b32_sdwa v15, v16, s40 dst_sel:DWORD dst_unused:UNUSED_PAD src0_sel:BYTE_3 src1_sel:DWORD
                                        ; implicit-def: $vgpr13_vgpr14
	s_and_saveexec_b64 s[0:1], vcc
	s_xor_b64 s[18:19], exec, s[0:1]
	s_cbranch_execz .LBB2_16
; %bb.7:                                ;   in Loop: Header=BB2_5 Depth=1
	v_mov_b32_e32 v13, 0
	v_cmp_ne_u32_e32 vcc, 0, v16
	v_mov_b32_e32 v14, 0
	s_and_saveexec_b64 s[20:21], vcc
	s_cbranch_execz .LBB2_15
; %bb.8:                                ;   in Loop: Header=BB2_5 Depth=1
	v_bfe_u32 v18, v16, 23, 8
	v_sub_u32_e64 v13, s41, v18 clamp
	v_cmp_eq_u32_e32 vcc, 0, v18
	v_and_b32_e32 v9, 0x7fffff, v16
	v_cndmask_b32_e32 v29, v13, v27, vcc
	v_or_b32_e32 v16, 0x800000, v9
	v_add_u32_e32 v13, 20, v29
	v_lshlrev_b64 v[13:14], v13, -1
	v_cndmask_b32_e32 v9, v16, v9, vcc
	v_add_u32_e32 v16, 19, v29
	v_lshlrev_b64 v[16:17], v16, 1
	v_bfi_b32 v14, v14, 0, 0
	v_bfi_b32 v13, v13, 0, v9
	v_cmp_eq_u64_e64 s[0:1], v[13:14], v[16:17]
	v_lshrrev_b64 v[13:14], v29, v[9:10]
	v_add_u32_e32 v9, 0xffffff88, v18
	v_cndmask_b32_e32 v9, v9, v28, vcc
	v_lshrrev_b32_e32 v14, 23, v13
	v_add3_u32 v16, v9, v29, v14
	v_and_b32_e32 v9, 0x100000, v13
	v_cmp_eq_u64_e32 vcc, 0, v[9:10]
	v_add_u32_e32 v17, -1, v16
	s_and_b64 vcc, vcc, s[0:1]
	v_subbrev_co_u32_e32 v9, vcc, 0, v13, vcc
	v_and_b32_e32 v9, 0xfffff, v9
	v_add_u32_e32 v9, v9, v13
	v_cmp_ne_u32_e32 vcc, 0, v17
                                        ; implicit-def: $vgpr13_vgpr14
                                        ; implicit-def: $vgpr18
	s_and_saveexec_b64 s[0:1], vcc
	s_xor_b64 s[0:1], exec, s[0:1]
; %bb.9:                                ;   in Loop: Header=BB2_5 Depth=1
	v_and_b32_e32 v29, 0x1000000, v9
	v_mov_b32_e32 v30, v10
	v_cmp_eq_u64_e32 vcc, 0, v[29:30]
	v_bfe_u32 v13, v9, 24, 1
	v_lshrrev_b64 v[13:14], v13, v[9:10]
	v_cndmask_b32_e32 v18, v16, v17, vcc
; %bb.10:                               ;   in Loop: Header=BB2_5 Depth=1
	s_andn2_saveexec_b64 s[0:1], s[0:1]
; %bb.11:                               ;   in Loop: Header=BB2_5 Depth=1
	v_mov_b32_e32 v14, v10
	v_bfe_u32 v18, v9, 23, 1
	v_mov_b32_e32 v13, v9
; %bb.12:                               ;   in Loop: Header=BB2_5 Depth=1
	s_or_b64 exec, exec, s[0:1]
	v_lshrrev_b64 v[13:14], 20, v[13:14]
	v_cmp_gt_i32_e32 vcc, 16, v18
	v_cndmask_b32_e32 v17, 0, v14, vcc
	v_cndmask_b32_e32 v16, 7, v13, vcc
	v_cmp_ne_u64_e32 vcc, 0, v[16:17]
	v_cmp_ne_u32_e64 s[0:1], 0, v18
	s_or_b64 s[0:1], s[0:1], vcc
	v_mov_b32_e32 v13, v15
	v_mov_b32_e32 v14, v16
	s_and_saveexec_b64 s[46:47], s[0:1]
	s_xor_b64 s[0:1], exec, s[46:47]
; %bb.13:                               ;   in Loop: Header=BB2_5 Depth=1
	v_min_i32_e32 v9, 15, v18
	v_lshl_or_b32 v9, v9, 3, v15
	v_and_or_b32 v13, v16, 7, v9
; %bb.14:                               ;   in Loop: Header=BB2_5 Depth=1
	s_andn2_saveexec_b64 s[0:1], s[0:1]
	s_or_b64 exec, exec, s[0:1]
.LBB2_15:                               ;   in Loop: Header=BB2_5 Depth=1
	s_or_b64 exec, exec, s[20:21]
                                        ; implicit-def: $vgpr15
.LBB2_16:                               ;   in Loop: Header=BB2_5 Depth=1
	s_andn2_saveexec_b64 s[0:1], s[18:19]
; %bb.17:                               ;   in Loop: Header=BB2_5 Depth=1
	v_or_b32_e32 v13, 0x7e, v15
; %bb.18:                               ;   in Loop: Header=BB2_5 Depth=1
	s_or_b64 exec, exec, s[0:1]
                                        ; implicit-def: $vgpr16
.LBB2_19:                               ;   in Loop: Header=BB2_5 Depth=1
	s_andn2_saveexec_b64 s[0:1], s[16:17]
; %bb.20:                               ;   in Loop: Header=BB2_5 Depth=1
	v_or_b32_sdwa v13, v16, s42 dst_sel:DWORD dst_unused:UNUSED_PAD src0_sel:BYTE_3 src1_sel:DWORD
; %bb.21:                               ;   in Loop: Header=BB2_5 Depth=1
	s_or_b64 exec, exec, s[0:1]
	v_cvt_f32_f16_sdwa v9, -v5 dst_sel:DWORD dst_unused:UNUSED_PAD src0_sel:WORD_1
	v_mul_f32_e32 v14, 0x3fb8aa3b, v9
	v_rndne_f32_e32 v15, v14
	v_fma_mix_f32 v16, -v5, s9, -v14 op_sel:[1,0,0] op_sel_hi:[1,0,0]
	v_sub_f32_e32 v14, v14, v15
	v_fma_mix_f32 v16, -v5, s37, v16 op_sel:[1,0,0] op_sel_hi:[1,0,0]
	v_add_f32_e32 v14, v14, v16
	v_cvt_i32_f32_e32 v15, v15
	v_exp_f32_e32 v14, v14
	v_cvt_f32_f16_sdwa v5, v5 dst_sel:DWORD dst_unused:UNUSED_PAD src0_sel:WORD_1
	v_cmp_ngt_f32_e32 vcc, s38, v9
	v_ldexp_f32 v14, v14, v15
	v_cndmask_b32_e32 v14, 0, v14, vcc
	v_cmp_nlt_f32_e32 vcc, s39, v9
	v_cndmask_b32_e32 v9, v26, v14, vcc
	v_add_f32_e32 v9, 1.0, v9
	v_div_scale_f32 v14, s[0:1], v9, v9, v5
	v_div_scale_f32 v15, vcc, v5, v9, v5
	v_rcp_f32_e32 v16, v14
	v_fma_f32 v17, -v14, v16, 1.0
	v_fmac_f32_e32 v16, v17, v16
	v_mul_f32_e32 v17, v15, v16
	v_fma_f32 v18, -v14, v17, v15
	v_fmac_f32_e32 v17, v18, v16
	v_fma_f32 v14, -v14, v17, v15
	v_div_fmas_f32 v14, v14, v16, v17
	v_div_fixup_f32 v5, v14, v9, v5
	v_cvt_f16_f32_e32 v5, v5
                                        ; implicit-def: $vgpr14_vgpr15
	v_mul_f16_sdwa v1, v1, v5 dst_sel:DWORD dst_unused:UNUSED_PAD src0_sel:WORD_1 src1_sel:DWORD
	v_cvt_f32_f16_e32 v1, v1
	v_mul_f32_e32 v1, v20, v1
	v_min_f32_e32 v1, 0x43e00000, v1
	v_max_f32_e32 v5, 0xc3e00000, v1
	v_and_b32_e32 v9, 0x7f800000, v5
	v_cmp_ne_u64_e32 vcc, s[12:13], v[9:10]
	s_and_saveexec_b64 s[0:1], vcc
	s_xor_b64 s[16:17], exec, s[0:1]
	s_cbranch_execz .LBB2_35
; %bb.22:                               ;   in Loop: Header=BB2_5 Depth=1
	v_and_b32_e32 v9, 0x7fffffff, v5
	v_cmp_gt_u64_e32 vcc, s[14:15], v[9:10]
	v_and_b32_sdwa v1, v5, s40 dst_sel:DWORD dst_unused:UNUSED_PAD src0_sel:BYTE_3 src1_sel:DWORD
                                        ; implicit-def: $vgpr14_vgpr15
	s_and_saveexec_b64 s[0:1], vcc
	s_xor_b64 s[18:19], exec, s[0:1]
	s_cbranch_execz .LBB2_32
; %bb.23:                               ;   in Loop: Header=BB2_5 Depth=1
	v_mov_b32_e32 v14, 0
	v_cmp_ne_u32_e32 vcc, 0, v5
	v_mov_b32_e32 v15, 0
	s_and_saveexec_b64 s[20:21], vcc
	s_cbranch_execz .LBB2_31
; %bb.24:                               ;   in Loop: Header=BB2_5 Depth=1
	v_and_b32_e32 v9, 0x7fffff, v5
	v_bfe_u32 v5, v5, 23, 8
	v_sub_u32_e64 v14, s41, v5 clamp
	v_cmp_eq_u32_e32 vcc, 0, v5
	v_cndmask_b32_e32 v18, v14, v27, vcc
	v_or_b32_e32 v16, 0x800000, v9
	v_add_u32_e32 v14, 20, v18
	v_lshlrev_b64 v[14:15], v14, -1
	v_cndmask_b32_e32 v9, v16, v9, vcc
	v_add_u32_e32 v16, 19, v18
	v_lshlrev_b64 v[16:17], v16, 1
	v_bfi_b32 v15, v15, 0, 0
	v_bfi_b32 v14, v14, 0, v9
	v_cmp_eq_u64_e64 s[0:1], v[14:15], v[16:17]
	v_lshrrev_b64 v[14:15], v18, v[9:10]
	v_add_u32_e32 v5, 0xffffff88, v5
	v_cndmask_b32_e32 v5, v5, v28, vcc
	v_lshrrev_b32_e32 v9, 23, v14
	v_add3_u32 v16, v5, v18, v9
	v_and_b32_e32 v9, 0x100000, v14
	v_cmp_eq_u64_e32 vcc, 0, v[9:10]
	v_add_u32_e32 v17, -1, v16
	s_and_b64 vcc, vcc, s[0:1]
	v_subbrev_co_u32_e32 v5, vcc, 0, v14, vcc
	v_and_b32_e32 v5, 0xfffff, v5
	v_add_u32_e32 v9, v5, v14
	v_cmp_ne_u32_e32 vcc, 0, v17
                                        ; implicit-def: $vgpr14_vgpr15
                                        ; implicit-def: $vgpr5
	s_and_saveexec_b64 s[0:1], vcc
	s_xor_b64 s[0:1], exec, s[0:1]
; %bb.25:                               ;   in Loop: Header=BB2_5 Depth=1
	v_and_b32_e32 v29, 0x1000000, v9
	v_mov_b32_e32 v30, v10
	v_bfe_u32 v5, v9, 24, 1
	v_cmp_eq_u64_e32 vcc, 0, v[29:30]
	v_lshrrev_b64 v[14:15], v5, v[9:10]
	v_cndmask_b32_e32 v5, v16, v17, vcc
; %bb.26:                               ;   in Loop: Header=BB2_5 Depth=1
	s_andn2_saveexec_b64 s[0:1], s[0:1]
; %bb.27:                               ;   in Loop: Header=BB2_5 Depth=1
	v_mov_b32_e32 v15, v10
	v_bfe_u32 v5, v9, 23, 1
	v_mov_b32_e32 v14, v9
; %bb.28:                               ;   in Loop: Header=BB2_5 Depth=1
	s_or_b64 exec, exec, s[0:1]
	v_lshrrev_b64 v[14:15], 20, v[14:15]
	v_cmp_gt_i32_e32 vcc, 16, v5
	v_cndmask_b32_e32 v17, 0, v15, vcc
	v_cndmask_b32_e32 v16, 7, v14, vcc
	v_cmp_ne_u64_e32 vcc, 0, v[16:17]
	v_cmp_ne_u32_e64 s[0:1], 0, v5
	v_mov_b32_e32 v15, v2
	s_or_b64 s[0:1], s[0:1], vcc
	v_mov_b32_e32 v14, v1
	s_and_saveexec_b64 s[46:47], s[0:1]
	s_xor_b64 s[0:1], exec, s[46:47]
; %bb.29:                               ;   in Loop: Header=BB2_5 Depth=1
	v_min_i32_e32 v5, 15, v5
	v_lshl_or_b32 v1, v5, 3, v1
	v_and_or_b32 v14, v16, 7, v1
; %bb.30:                               ;   in Loop: Header=BB2_5 Depth=1
	s_andn2_saveexec_b64 s[0:1], s[0:1]
	s_or_b64 exec, exec, s[0:1]
.LBB2_31:                               ;   in Loop: Header=BB2_5 Depth=1
	s_or_b64 exec, exec, s[20:21]
                                        ; implicit-def: $vgpr1
.LBB2_32:                               ;   in Loop: Header=BB2_5 Depth=1
	s_andn2_saveexec_b64 s[0:1], s[18:19]
; %bb.33:                               ;   in Loop: Header=BB2_5 Depth=1
	v_or_b32_e32 v14, 0x7e, v1
; %bb.34:                               ;   in Loop: Header=BB2_5 Depth=1
	s_or_b64 exec, exec, s[0:1]
                                        ; implicit-def: $vgpr5
.LBB2_35:                               ;   in Loop: Header=BB2_5 Depth=1
	s_andn2_saveexec_b64 s[0:1], s[16:17]
; %bb.36:                               ;   in Loop: Header=BB2_5 Depth=1
	v_or_b32_sdwa v14, v5, s42 dst_sel:DWORD dst_unused:UNUSED_PAD src0_sel:BYTE_3 src1_sel:DWORD
; %bb.37:                               ;   in Loop: Header=BB2_5 Depth=1
	s_or_b64 exec, exec, s[0:1]
	v_cvt_f32_f16_e64 v1, -v6
	v_mul_f32_e32 v5, 0x3fb8aa3b, v1
	v_rndne_f32_e32 v9, v5
	v_fma_mix_f32 v15, -v6, s9, -v5 op_sel_hi:[1,0,0]
	v_sub_f32_e32 v5, v5, v9
	v_fma_mix_f32 v15, -v6, s37, v15 op_sel_hi:[1,0,0]
	v_add_f32_e32 v5, v5, v15
	v_cvt_i32_f32_e32 v9, v9
	v_exp_f32_e32 v5, v5
	v_cvt_f32_f16_e32 v15, v6
	v_cmp_ngt_f32_e32 vcc, s38, v1
	v_ldexp_f32 v5, v5, v9
	v_cndmask_b32_e32 v5, 0, v5, vcc
	v_cmp_nlt_f32_e32 vcc, s39, v1
	v_cndmask_b32_e32 v1, v26, v5, vcc
	v_add_f32_e32 v1, 1.0, v1
	v_div_scale_f32 v5, s[0:1], v1, v1, v15
	v_div_scale_f32 v9, vcc, v15, v1, v15
	v_rcp_f32_e32 v16, v5
	v_fma_f32 v17, -v5, v16, 1.0
	v_fmac_f32_e32 v16, v17, v16
	v_mul_f32_e32 v17, v9, v16
	v_fma_f32 v18, -v5, v17, v9
	v_fmac_f32_e32 v17, v18, v16
	v_fma_f32 v5, -v5, v17, v9
	v_div_fmas_f32 v5, v5, v16, v17
	v_div_fixup_f32 v1, v5, v1, v15
	v_cvt_f16_f32_e32 v1, v1
                                        ; implicit-def: $vgpr15_vgpr16
	v_mul_f16_e32 v1, v2, v1
	v_cvt_f32_f16_e32 v1, v1
	v_mul_f32_e32 v1, v20, v1
	v_min_f32_e32 v1, 0x43e00000, v1
	v_max_f32_e32 v5, 0xc3e00000, v1
	v_and_b32_e32 v9, 0x7f800000, v5
	v_cmp_ne_u64_e32 vcc, s[12:13], v[9:10]
	s_and_saveexec_b64 s[0:1], vcc
	s_xor_b64 s[16:17], exec, s[0:1]
	s_cbranch_execz .LBB2_51
; %bb.38:                               ;   in Loop: Header=BB2_5 Depth=1
	v_and_b32_e32 v9, 0x7fffffff, v5
	v_cmp_gt_u64_e32 vcc, s[14:15], v[9:10]
	v_and_b32_sdwa v1, v5, s40 dst_sel:DWORD dst_unused:UNUSED_PAD src0_sel:BYTE_3 src1_sel:DWORD
                                        ; implicit-def: $vgpr15_vgpr16
	s_and_saveexec_b64 s[0:1], vcc
	s_xor_b64 s[18:19], exec, s[0:1]
	s_cbranch_execz .LBB2_48
; %bb.39:                               ;   in Loop: Header=BB2_5 Depth=1
	v_mov_b32_e32 v15, 0
	v_cmp_ne_u32_e32 vcc, 0, v5
	v_mov_b32_e32 v16, 0
	s_and_saveexec_b64 s[20:21], vcc
	s_cbranch_execz .LBB2_47
; %bb.40:                               ;   in Loop: Header=BB2_5 Depth=1
	v_and_b32_e32 v9, 0x7fffff, v5
	v_bfe_u32 v5, v5, 23, 8
	v_sub_u32_e64 v15, s41, v5 clamp
	v_cmp_eq_u32_e32 vcc, 0, v5
	v_cndmask_b32_e32 v29, v15, v27, vcc
	v_or_b32_e32 v17, 0x800000, v9
	v_add_u32_e32 v15, 20, v29
	v_lshlrev_b64 v[15:16], v15, -1
	v_cndmask_b32_e32 v9, v17, v9, vcc
	v_add_u32_e32 v17, 19, v29
	v_lshlrev_b64 v[17:18], v17, 1
	v_bfi_b32 v16, v16, 0, 0
	v_bfi_b32 v15, v15, 0, v9
	v_cmp_eq_u64_e64 s[0:1], v[15:16], v[17:18]
	v_lshrrev_b64 v[15:16], v29, v[9:10]
	v_add_u32_e32 v5, 0xffffff88, v5
	v_cndmask_b32_e32 v5, v5, v28, vcc
	v_lshrrev_b32_e32 v9, 23, v15
	v_add3_u32 v17, v5, v29, v9
	v_and_b32_e32 v9, 0x100000, v15
	v_cmp_eq_u64_e32 vcc, 0, v[9:10]
	v_add_u32_e32 v18, -1, v17
	s_and_b64 vcc, vcc, s[0:1]
	v_subbrev_co_u32_e32 v5, vcc, 0, v15, vcc
	v_and_b32_e32 v5, 0xfffff, v5
	v_add_u32_e32 v9, v5, v15
	v_cmp_ne_u32_e32 vcc, 0, v18
                                        ; implicit-def: $vgpr15_vgpr16
                                        ; implicit-def: $vgpr5
	s_and_saveexec_b64 s[0:1], vcc
	s_xor_b64 s[0:1], exec, s[0:1]
; %bb.41:                               ;   in Loop: Header=BB2_5 Depth=1
	v_and_b32_e32 v29, 0x1000000, v9
	v_mov_b32_e32 v30, v10
	v_bfe_u32 v5, v9, 24, 1
	v_cmp_eq_u64_e32 vcc, 0, v[29:30]
	v_lshrrev_b64 v[15:16], v5, v[9:10]
	v_cndmask_b32_e32 v5, v17, v18, vcc
; %bb.42:                               ;   in Loop: Header=BB2_5 Depth=1
	s_andn2_saveexec_b64 s[0:1], s[0:1]
; %bb.43:                               ;   in Loop: Header=BB2_5 Depth=1
	v_mov_b32_e32 v16, v10
	v_bfe_u32 v5, v9, 23, 1
	v_mov_b32_e32 v15, v9
; %bb.44:                               ;   in Loop: Header=BB2_5 Depth=1
	s_or_b64 exec, exec, s[0:1]
	v_lshrrev_b64 v[15:16], 20, v[15:16]
	v_cmp_gt_i32_e32 vcc, 16, v5
	v_cndmask_b32_e32 v18, 0, v16, vcc
	v_cndmask_b32_e32 v17, 7, v15, vcc
	v_cmp_ne_u64_e32 vcc, 0, v[17:18]
	v_cmp_ne_u32_e64 s[0:1], 0, v5
	v_mov_b32_e32 v16, v2
	s_or_b64 s[0:1], s[0:1], vcc
	v_mov_b32_e32 v15, v1
	s_and_saveexec_b64 s[46:47], s[0:1]
	s_xor_b64 s[0:1], exec, s[46:47]
; %bb.45:                               ;   in Loop: Header=BB2_5 Depth=1
	v_min_i32_e32 v5, 15, v5
	v_lshl_or_b32 v1, v5, 3, v1
	v_and_or_b32 v15, v17, 7, v1
; %bb.46:                               ;   in Loop: Header=BB2_5 Depth=1
	s_andn2_saveexec_b64 s[0:1], s[0:1]
	s_or_b64 exec, exec, s[0:1]
.LBB2_47:                               ;   in Loop: Header=BB2_5 Depth=1
	s_or_b64 exec, exec, s[20:21]
                                        ; implicit-def: $vgpr1
.LBB2_48:                               ;   in Loop: Header=BB2_5 Depth=1
	s_andn2_saveexec_b64 s[0:1], s[18:19]
; %bb.49:                               ;   in Loop: Header=BB2_5 Depth=1
	v_or_b32_e32 v15, 0x7e, v1
; %bb.50:                               ;   in Loop: Header=BB2_5 Depth=1
	s_or_b64 exec, exec, s[0:1]
                                        ; implicit-def: $vgpr5
.LBB2_51:                               ;   in Loop: Header=BB2_5 Depth=1
	s_andn2_saveexec_b64 s[0:1], s[16:17]
; %bb.52:                               ;   in Loop: Header=BB2_5 Depth=1
	v_or_b32_sdwa v15, v5, s42 dst_sel:DWORD dst_unused:UNUSED_PAD src0_sel:BYTE_3 src1_sel:DWORD
; %bb.53:                               ;   in Loop: Header=BB2_5 Depth=1
	s_or_b64 exec, exec, s[0:1]
	v_cvt_f32_f16_sdwa v1, -v6 dst_sel:DWORD dst_unused:UNUSED_PAD src0_sel:WORD_1
	v_mul_f32_e32 v5, 0x3fb8aa3b, v1
	v_rndne_f32_e32 v9, v5
	v_fma_mix_f32 v16, -v6, s9, -v5 op_sel:[1,0,0] op_sel_hi:[1,0,0]
	v_sub_f32_e32 v5, v5, v9
	v_fma_mix_f32 v16, -v6, s37, v16 op_sel:[1,0,0] op_sel_hi:[1,0,0]
	v_add_f32_e32 v5, v5, v16
	v_cvt_i32_f32_e32 v9, v9
	v_exp_f32_e32 v5, v5
	v_cvt_f32_f16_sdwa v6, v6 dst_sel:DWORD dst_unused:UNUSED_PAD src0_sel:WORD_1
	v_cmp_ngt_f32_e32 vcc, s38, v1
	v_ldexp_f32 v5, v5, v9
	v_cndmask_b32_e32 v5, 0, v5, vcc
	v_cmp_nlt_f32_e32 vcc, s39, v1
	v_cndmask_b32_e32 v1, v26, v5, vcc
	v_add_f32_e32 v1, 1.0, v1
	v_div_scale_f32 v5, s[0:1], v1, v1, v6
	v_div_scale_f32 v9, vcc, v6, v1, v6
	v_rcp_f32_e32 v16, v5
	v_fma_f32 v17, -v5, v16, 1.0
	v_fmac_f32_e32 v16, v17, v16
	v_mul_f32_e32 v17, v9, v16
	v_fma_f32 v18, -v5, v17, v9
	v_fmac_f32_e32 v17, v18, v16
	v_fma_f32 v5, -v5, v17, v9
	v_div_fmas_f32 v5, v5, v16, v17
	v_div_fixup_f32 v1, v5, v1, v6
	v_cvt_f16_f32_e32 v1, v1
	v_mul_f16_sdwa v1, v2, v1 dst_sel:DWORD dst_unused:UNUSED_PAD src0_sel:WORD_1 src1_sel:DWORD
	v_cvt_f32_f16_e32 v1, v1
	v_mul_f32_e32 v1, v20, v1
	v_min_f32_e32 v1, 0x43e00000, v1
	v_max_f32_e32 v6, 0xc3e00000, v1
	v_and_b32_e32 v9, 0x7f800000, v6
	v_cmp_ne_u64_e32 vcc, s[12:13], v[9:10]
                                        ; implicit-def: $vgpr1_vgpr2
	s_and_saveexec_b64 s[0:1], vcc
	s_xor_b64 s[16:17], exec, s[0:1]
	s_cbranch_execz .LBB2_67
; %bb.54:                               ;   in Loop: Header=BB2_5 Depth=1
	v_and_b32_e32 v9, 0x7fffffff, v6
	v_cmp_gt_u64_e32 vcc, s[14:15], v[9:10]
	v_and_b32_sdwa v5, v6, s40 dst_sel:DWORD dst_unused:UNUSED_PAD src0_sel:BYTE_3 src1_sel:DWORD
                                        ; implicit-def: $vgpr1_vgpr2
	s_and_saveexec_b64 s[0:1], vcc
	s_xor_b64 s[18:19], exec, s[0:1]
	s_cbranch_execz .LBB2_64
; %bb.55:                               ;   in Loop: Header=BB2_5 Depth=1
	v_mov_b32_e32 v1, 0
	v_cmp_ne_u32_e32 vcc, 0, v6
	v_mov_b32_e32 v2, 0
	s_and_saveexec_b64 s[20:21], vcc
	s_cbranch_execz .LBB2_63
; %bb.56:                               ;   in Loop: Header=BB2_5 Depth=1
	v_and_b32_e32 v9, 0x7fffff, v6
	v_bfe_u32 v6, v6, 23, 8
	v_sub_u32_e64 v1, s41, v6 clamp
	v_cmp_eq_u32_e32 vcc, 0, v6
	v_cndmask_b32_e32 v18, v1, v27, vcc
	v_or_b32_e32 v16, 0x800000, v9
	v_add_u32_e32 v1, 20, v18
	v_lshlrev_b64 v[1:2], v1, -1
	v_cndmask_b32_e32 v9, v16, v9, vcc
	v_add_u32_e32 v16, 19, v18
	v_lshlrev_b64 v[16:17], v16, 1
	v_bfi_b32 v2, v2, 0, 0
	v_bfi_b32 v1, v1, 0, v9
	v_cmp_eq_u64_e64 s[0:1], v[1:2], v[16:17]
	v_lshrrev_b64 v[1:2], v18, v[9:10]
	v_add_u32_e32 v2, 0xffffff88, v6
	v_and_b32_e32 v9, 0x100000, v1
	v_cndmask_b32_e32 v2, v2, v28, vcc
	v_cmp_eq_u64_e32 vcc, 0, v[9:10]
	v_lshrrev_b32_e32 v6, 23, v1
	s_and_b64 vcc, vcc, s[0:1]
	v_add3_u32 v16, v2, v18, v6
	v_subbrev_co_u32_e32 v2, vcc, 0, v1, vcc
	v_add_u32_e32 v17, -1, v16
	v_and_b32_e32 v2, 0xfffff, v2
	v_add_u32_e32 v9, v2, v1
	v_cmp_ne_u32_e32 vcc, 0, v17
                                        ; implicit-def: $vgpr1_vgpr2
                                        ; implicit-def: $vgpr6
	s_and_saveexec_b64 s[0:1], vcc
	s_xor_b64 s[0:1], exec, s[0:1]
; %bb.57:                               ;   in Loop: Header=BB2_5 Depth=1
	v_and_b32_e32 v29, 0x1000000, v9
	v_mov_b32_e32 v30, v10
	v_bfe_u32 v1, v9, 24, 1
	v_cmp_eq_u64_e32 vcc, 0, v[29:30]
	v_lshrrev_b64 v[1:2], v1, v[9:10]
	v_cndmask_b32_e32 v6, v16, v17, vcc
; %bb.58:                               ;   in Loop: Header=BB2_5 Depth=1
	s_andn2_saveexec_b64 s[0:1], s[0:1]
; %bb.59:                               ;   in Loop: Header=BB2_5 Depth=1
	v_mov_b32_e32 v1, v9
	v_bfe_u32 v6, v9, 23, 1
	v_mov_b32_e32 v2, v10
; %bb.60:                               ;   in Loop: Header=BB2_5 Depth=1
	s_or_b64 exec, exec, s[0:1]
	v_lshrrev_b64 v[1:2], 20, v[1:2]
	v_cmp_gt_i32_e32 vcc, 16, v6
	v_cndmask_b32_e32 v17, 0, v2, vcc
	v_cndmask_b32_e32 v16, 7, v1, vcc
	v_cmp_ne_u64_e32 vcc, 0, v[16:17]
	v_cmp_ne_u32_e64 s[0:1], 0, v6
	s_or_b64 s[0:1], s[0:1], vcc
	v_mov_b32_e32 v1, v5
	v_mov_b32_e32 v2, v6
	s_and_saveexec_b64 s[46:47], s[0:1]
	s_xor_b64 s[0:1], exec, s[46:47]
; %bb.61:                               ;   in Loop: Header=BB2_5 Depth=1
	v_min_i32_e32 v1, 15, v6
	v_lshl_or_b32 v1, v1, 3, v5
	v_and_or_b32 v1, v16, 7, v1
; %bb.62:                               ;   in Loop: Header=BB2_5 Depth=1
	s_andn2_saveexec_b64 s[0:1], s[0:1]
	s_or_b64 exec, exec, s[0:1]
.LBB2_63:                               ;   in Loop: Header=BB2_5 Depth=1
	s_or_b64 exec, exec, s[20:21]
                                        ; implicit-def: $vgpr5
.LBB2_64:                               ;   in Loop: Header=BB2_5 Depth=1
	s_andn2_saveexec_b64 s[0:1], s[18:19]
; %bb.65:                               ;   in Loop: Header=BB2_5 Depth=1
	v_or_b32_e32 v1, 0x7e, v5
; %bb.66:                               ;   in Loop: Header=BB2_5 Depth=1
	s_or_b64 exec, exec, s[0:1]
                                        ; implicit-def: $vgpr6
.LBB2_67:                               ;   in Loop: Header=BB2_5 Depth=1
	s_andn2_saveexec_b64 s[0:1], s[16:17]
; %bb.68:                               ;   in Loop: Header=BB2_5 Depth=1
	v_or_b32_sdwa v1, v6, s42 dst_sel:DWORD dst_unused:UNUSED_PAD src0_sel:BYTE_3 src1_sel:DWORD
; %bb.69:                               ;   in Loop: Header=BB2_5 Depth=1
	s_or_b64 exec, exec, s[0:1]
	v_cvt_f32_f16_e64 v2, -v7
	v_mul_f32_e32 v5, 0x3fb8aa3b, v2
	v_rndne_f32_e32 v6, v5
	v_fma_mix_f32 v9, -v7, s9, -v5 op_sel_hi:[1,0,0]
	v_sub_f32_e32 v5, v5, v6
	v_fma_mix_f32 v9, -v7, s37, v9 op_sel_hi:[1,0,0]
	v_add_f32_e32 v5, v5, v9
	v_cvt_i32_f32_e32 v6, v6
	v_exp_f32_e32 v5, v5
	v_cvt_f32_f16_e32 v9, v7
	v_cmp_ngt_f32_e32 vcc, s38, v2
	v_ldexp_f32 v5, v5, v6
	v_cndmask_b32_e32 v5, 0, v5, vcc
	v_cmp_nlt_f32_e32 vcc, s39, v2
	v_cndmask_b32_e32 v2, v26, v5, vcc
	v_add_f32_e32 v2, 1.0, v2
	v_div_scale_f32 v5, s[0:1], v2, v2, v9
	v_div_scale_f32 v6, vcc, v9, v2, v9
	v_rcp_f32_e32 v16, v5
	v_fma_f32 v17, -v5, v16, 1.0
	v_fmac_f32_e32 v16, v17, v16
	v_mul_f32_e32 v17, v6, v16
	v_fma_f32 v18, -v5, v17, v6
	v_fmac_f32_e32 v17, v18, v16
	v_fma_f32 v5, -v5, v17, v6
	v_div_fmas_f32 v5, v5, v16, v17
	v_div_fixup_f32 v2, v5, v2, v9
	v_cvt_f16_f32_e32 v2, v2
                                        ; implicit-def: $vgpr5_vgpr6
	v_mul_f16_e32 v2, v3, v2
	v_cvt_f32_f16_e32 v2, v2
	v_mul_f32_e32 v2, v20, v2
	v_min_f32_e32 v2, 0x43e00000, v2
	v_max_f32_e32 v16, 0xc3e00000, v2
	v_and_b32_e32 v9, 0x7f800000, v16
	v_cmp_ne_u64_e32 vcc, s[12:13], v[9:10]
	s_and_saveexec_b64 s[0:1], vcc
	s_xor_b64 s[16:17], exec, s[0:1]
	s_cbranch_execz .LBB2_83
; %bb.70:                               ;   in Loop: Header=BB2_5 Depth=1
	v_and_b32_e32 v9, 0x7fffffff, v16
	v_cmp_gt_u64_e32 vcc, s[14:15], v[9:10]
	v_and_b32_sdwa v2, v16, s40 dst_sel:DWORD dst_unused:UNUSED_PAD src0_sel:BYTE_3 src1_sel:DWORD
                                        ; implicit-def: $vgpr5_vgpr6
	s_and_saveexec_b64 s[0:1], vcc
	s_xor_b64 s[18:19], exec, s[0:1]
	s_cbranch_execz .LBB2_80
; %bb.71:                               ;   in Loop: Header=BB2_5 Depth=1
	v_mov_b32_e32 v5, 0
	v_cmp_ne_u32_e32 vcc, 0, v16
	v_mov_b32_e32 v6, 0
	s_and_saveexec_b64 s[20:21], vcc
	s_cbranch_execz .LBB2_79
; %bb.72:                               ;   in Loop: Header=BB2_5 Depth=1
	v_bfe_u32 v18, v16, 23, 8
	v_sub_u32_e64 v5, s41, v18 clamp
	v_cmp_eq_u32_e32 vcc, 0, v18
	v_and_b32_e32 v9, 0x7fffff, v16
	v_cndmask_b32_e32 v29, v5, v27, vcc
	v_or_b32_e32 v16, 0x800000, v9
	v_add_u32_e32 v5, 20, v29
	v_lshlrev_b64 v[5:6], v5, -1
	v_cndmask_b32_e32 v9, v16, v9, vcc
	v_add_u32_e32 v16, 19, v29
	v_lshlrev_b64 v[16:17], v16, 1
	v_bfi_b32 v6, v6, 0, 0
	v_bfi_b32 v5, v5, 0, v9
	v_cmp_eq_u64_e64 s[0:1], v[5:6], v[16:17]
	v_lshrrev_b64 v[5:6], v29, v[9:10]
	v_add_u32_e32 v6, 0xffffff88, v18
	v_cndmask_b32_e32 v6, v6, v28, vcc
	v_lshrrev_b32_e32 v9, 23, v5
	v_add3_u32 v16, v6, v29, v9
	v_and_b32_e32 v9, 0x100000, v5
	v_cmp_eq_u64_e32 vcc, 0, v[9:10]
	v_add_u32_e32 v17, -1, v16
	s_and_b64 vcc, vcc, s[0:1]
	v_subbrev_co_u32_e32 v6, vcc, 0, v5, vcc
	v_and_b32_e32 v6, 0xfffff, v6
	v_add_u32_e32 v9, v6, v5
	v_cmp_ne_u32_e32 vcc, 0, v17
                                        ; implicit-def: $vgpr5_vgpr6
                                        ; implicit-def: $vgpr18
	s_and_saveexec_b64 s[0:1], vcc
	s_xor_b64 s[0:1], exec, s[0:1]
; %bb.73:                               ;   in Loop: Header=BB2_5 Depth=1
	v_and_b32_e32 v29, 0x1000000, v9
	v_mov_b32_e32 v30, v10
	v_bfe_u32 v5, v9, 24, 1
	v_cmp_eq_u64_e32 vcc, 0, v[29:30]
	v_lshrrev_b64 v[5:6], v5, v[9:10]
	v_cndmask_b32_e32 v18, v16, v17, vcc
; %bb.74:                               ;   in Loop: Header=BB2_5 Depth=1
	s_andn2_saveexec_b64 s[0:1], s[0:1]
; %bb.75:                               ;   in Loop: Header=BB2_5 Depth=1
	v_mov_b32_e32 v5, v9
	v_bfe_u32 v18, v9, 23, 1
	v_mov_b32_e32 v6, v10
; %bb.76:                               ;   in Loop: Header=BB2_5 Depth=1
	s_or_b64 exec, exec, s[0:1]
	v_lshrrev_b64 v[5:6], 20, v[5:6]
	v_cmp_gt_i32_e32 vcc, 16, v18
	v_cndmask_b32_e32 v17, 0, v6, vcc
	v_cndmask_b32_e32 v16, 7, v5, vcc
	v_cmp_ne_u64_e32 vcc, 0, v[16:17]
	v_cmp_ne_u32_e64 s[0:1], 0, v18
	v_mov_b32_e32 v6, v3
	s_or_b64 s[0:1], s[0:1], vcc
	v_mov_b32_e32 v5, v2
	s_and_saveexec_b64 s[46:47], s[0:1]
	s_xor_b64 s[0:1], exec, s[46:47]
; %bb.77:                               ;   in Loop: Header=BB2_5 Depth=1
	v_min_i32_e32 v5, 15, v18
	v_lshl_or_b32 v2, v5, 3, v2
	v_and_or_b32 v5, v16, 7, v2
; %bb.78:                               ;   in Loop: Header=BB2_5 Depth=1
	s_andn2_saveexec_b64 s[0:1], s[0:1]
	s_or_b64 exec, exec, s[0:1]
.LBB2_79:                               ;   in Loop: Header=BB2_5 Depth=1
	s_or_b64 exec, exec, s[20:21]
                                        ; implicit-def: $vgpr2
.LBB2_80:                               ;   in Loop: Header=BB2_5 Depth=1
	s_andn2_saveexec_b64 s[0:1], s[18:19]
; %bb.81:                               ;   in Loop: Header=BB2_5 Depth=1
	v_or_b32_e32 v5, 0x7e, v2
; %bb.82:                               ;   in Loop: Header=BB2_5 Depth=1
	s_or_b64 exec, exec, s[0:1]
                                        ; implicit-def: $vgpr16
.LBB2_83:                               ;   in Loop: Header=BB2_5 Depth=1
	s_andn2_saveexec_b64 s[0:1], s[16:17]
; %bb.84:                               ;   in Loop: Header=BB2_5 Depth=1
	v_or_b32_sdwa v5, v16, s42 dst_sel:DWORD dst_unused:UNUSED_PAD src0_sel:BYTE_3 src1_sel:DWORD
; %bb.85:                               ;   in Loop: Header=BB2_5 Depth=1
	s_or_b64 exec, exec, s[0:1]
	v_cvt_f32_f16_sdwa v2, -v7 dst_sel:DWORD dst_unused:UNUSED_PAD src0_sel:WORD_1
	v_mul_f32_e32 v6, 0x3fb8aa3b, v2
	v_rndne_f32_e32 v9, v6
	v_fma_mix_f32 v16, -v7, s9, -v6 op_sel:[1,0,0] op_sel_hi:[1,0,0]
	v_sub_f32_e32 v6, v6, v9
	v_fma_mix_f32 v16, -v7, s37, v16 op_sel:[1,0,0] op_sel_hi:[1,0,0]
	v_add_f32_e32 v6, v6, v16
	v_cvt_i32_f32_e32 v9, v9
	v_exp_f32_e32 v6, v6
	v_cvt_f32_f16_sdwa v7, v7 dst_sel:DWORD dst_unused:UNUSED_PAD src0_sel:WORD_1
	v_cmp_ngt_f32_e32 vcc, s38, v2
	v_ldexp_f32 v6, v6, v9
	v_cndmask_b32_e32 v6, 0, v6, vcc
	v_cmp_nlt_f32_e32 vcc, s39, v2
	v_cndmask_b32_e32 v2, v26, v6, vcc
	v_add_f32_e32 v2, 1.0, v2
	v_div_scale_f32 v6, s[0:1], v2, v2, v7
	v_div_scale_f32 v9, vcc, v7, v2, v7
	v_rcp_f32_e32 v16, v6
	v_fma_f32 v17, -v6, v16, 1.0
	v_fmac_f32_e32 v16, v17, v16
	v_mul_f32_e32 v17, v9, v16
	v_fma_f32 v18, -v6, v17, v9
	v_fmac_f32_e32 v17, v18, v16
	v_fma_f32 v6, -v6, v17, v9
	v_div_fmas_f32 v6, v6, v16, v17
	v_div_fixup_f32 v2, v6, v2, v7
	v_cvt_f16_f32_e32 v2, v2
	v_mul_f16_sdwa v2, v3, v2 dst_sel:DWORD dst_unused:UNUSED_PAD src0_sel:WORD_1 src1_sel:DWORD
	v_cvt_f32_f16_e32 v2, v2
	v_mul_f32_e32 v2, v20, v2
	v_min_f32_e32 v2, 0x43e00000, v2
	v_max_f32_e32 v7, 0xc3e00000, v2
	v_and_b32_e32 v9, 0x7f800000, v7
	v_cmp_ne_u64_e32 vcc, s[12:13], v[9:10]
                                        ; implicit-def: $vgpr2_vgpr3
	s_and_saveexec_b64 s[0:1], vcc
	s_xor_b64 s[16:17], exec, s[0:1]
	s_cbranch_execz .LBB2_99
; %bb.86:                               ;   in Loop: Header=BB2_5 Depth=1
	v_and_b32_e32 v9, 0x7fffffff, v7
	v_cmp_gt_u64_e32 vcc, s[14:15], v[9:10]
	v_and_b32_sdwa v6, v7, s40 dst_sel:DWORD dst_unused:UNUSED_PAD src0_sel:BYTE_3 src1_sel:DWORD
                                        ; implicit-def: $vgpr2_vgpr3
	s_and_saveexec_b64 s[0:1], vcc
	s_xor_b64 s[18:19], exec, s[0:1]
	s_cbranch_execz .LBB2_96
; %bb.87:                               ;   in Loop: Header=BB2_5 Depth=1
	v_mov_b32_e32 v2, 0
	v_cmp_ne_u32_e32 vcc, 0, v7
	v_mov_b32_e32 v3, 0
	s_and_saveexec_b64 s[20:21], vcc
	s_cbranch_execz .LBB2_95
; %bb.88:                               ;   in Loop: Header=BB2_5 Depth=1
	v_and_b32_e32 v9, 0x7fffff, v7
	v_bfe_u32 v7, v7, 23, 8
	v_sub_u32_e64 v2, s41, v7 clamp
	v_cmp_eq_u32_e32 vcc, 0, v7
	v_cndmask_b32_e32 v18, v2, v27, vcc
	v_or_b32_e32 v16, 0x800000, v9
	v_add_u32_e32 v2, 20, v18
	v_lshlrev_b64 v[2:3], v2, -1
	v_cndmask_b32_e32 v9, v16, v9, vcc
	v_add_u32_e32 v16, 19, v18
	v_lshlrev_b64 v[16:17], v16, 1
	v_bfi_b32 v3, v3, 0, 0
	v_bfi_b32 v2, v2, 0, v9
	v_cmp_eq_u64_e64 s[0:1], v[2:3], v[16:17]
	v_lshrrev_b64 v[2:3], v18, v[9:10]
	v_add_u32_e32 v3, 0xffffff88, v7
	v_and_b32_e32 v9, 0x100000, v2
	v_cndmask_b32_e32 v3, v3, v28, vcc
	v_cmp_eq_u64_e32 vcc, 0, v[9:10]
	v_lshrrev_b32_e32 v7, 23, v2
	s_and_b64 vcc, vcc, s[0:1]
	v_add3_u32 v16, v3, v18, v7
	v_subbrev_co_u32_e32 v3, vcc, 0, v2, vcc
	v_add_u32_e32 v17, -1, v16
	v_and_b32_e32 v3, 0xfffff, v3
	v_add_u32_e32 v9, v3, v2
	v_cmp_ne_u32_e32 vcc, 0, v17
                                        ; implicit-def: $vgpr2_vgpr3
                                        ; implicit-def: $vgpr7
	s_and_saveexec_b64 s[0:1], vcc
	s_xor_b64 s[0:1], exec, s[0:1]
; %bb.89:                               ;   in Loop: Header=BB2_5 Depth=1
	v_and_b32_e32 v29, 0x1000000, v9
	v_mov_b32_e32 v30, v10
	v_bfe_u32 v2, v9, 24, 1
	v_cmp_eq_u64_e32 vcc, 0, v[29:30]
	v_lshrrev_b64 v[2:3], v2, v[9:10]
	v_cndmask_b32_e32 v7, v16, v17, vcc
; %bb.90:                               ;   in Loop: Header=BB2_5 Depth=1
	s_andn2_saveexec_b64 s[0:1], s[0:1]
; %bb.91:                               ;   in Loop: Header=BB2_5 Depth=1
	v_mov_b32_e32 v2, v9
	v_bfe_u32 v7, v9, 23, 1
	v_mov_b32_e32 v3, v10
; %bb.92:                               ;   in Loop: Header=BB2_5 Depth=1
	s_or_b64 exec, exec, s[0:1]
	v_lshrrev_b64 v[2:3], 20, v[2:3]
	v_cmp_gt_i32_e32 vcc, 16, v7
	v_cndmask_b32_e32 v17, 0, v3, vcc
	v_cndmask_b32_e32 v16, 7, v2, vcc
	v_cmp_ne_u64_e32 vcc, 0, v[16:17]
	v_cmp_ne_u32_e64 s[0:1], 0, v7
	s_or_b64 s[0:1], s[0:1], vcc
	v_mov_b32_e32 v2, v6
	v_mov_b32_e32 v3, v7
	s_and_saveexec_b64 s[46:47], s[0:1]
	s_xor_b64 s[0:1], exec, s[46:47]
; %bb.93:                               ;   in Loop: Header=BB2_5 Depth=1
	v_min_i32_e32 v2, 15, v7
	v_lshl_or_b32 v2, v2, 3, v6
	v_and_or_b32 v2, v16, 7, v2
; %bb.94:                               ;   in Loop: Header=BB2_5 Depth=1
	s_andn2_saveexec_b64 s[0:1], s[0:1]
	s_or_b64 exec, exec, s[0:1]
.LBB2_95:                               ;   in Loop: Header=BB2_5 Depth=1
	s_or_b64 exec, exec, s[20:21]
                                        ; implicit-def: $vgpr6
.LBB2_96:                               ;   in Loop: Header=BB2_5 Depth=1
	s_andn2_saveexec_b64 s[0:1], s[18:19]
; %bb.97:                               ;   in Loop: Header=BB2_5 Depth=1
	v_or_b32_e32 v2, 0x7e, v6
; %bb.98:                               ;   in Loop: Header=BB2_5 Depth=1
	s_or_b64 exec, exec, s[0:1]
                                        ; implicit-def: $vgpr7
.LBB2_99:                               ;   in Loop: Header=BB2_5 Depth=1
	s_andn2_saveexec_b64 s[0:1], s[16:17]
; %bb.100:                              ;   in Loop: Header=BB2_5 Depth=1
	v_or_b32_sdwa v2, v7, s42 dst_sel:DWORD dst_unused:UNUSED_PAD src0_sel:BYTE_3 src1_sel:DWORD
; %bb.101:                              ;   in Loop: Header=BB2_5 Depth=1
	s_or_b64 exec, exec, s[0:1]
	v_cvt_f32_f16_e64 v3, -v8
	v_mul_f32_e32 v6, 0x3fb8aa3b, v3
	v_rndne_f32_e32 v7, v6
	v_fma_mix_f32 v9, -v8, s9, -v6 op_sel_hi:[1,0,0]
	v_sub_f32_e32 v6, v6, v7
	v_fma_mix_f32 v9, -v8, s37, v9 op_sel_hi:[1,0,0]
	v_add_f32_e32 v6, v6, v9
	v_cvt_i32_f32_e32 v7, v7
	v_exp_f32_e32 v6, v6
	v_cvt_f32_f16_e32 v9, v8
	v_cmp_ngt_f32_e32 vcc, s38, v3
	v_ldexp_f32 v6, v6, v7
	v_cndmask_b32_e32 v6, 0, v6, vcc
	v_cmp_nlt_f32_e32 vcc, s39, v3
	v_cndmask_b32_e32 v3, v26, v6, vcc
	v_add_f32_e32 v3, 1.0, v3
	v_div_scale_f32 v6, s[0:1], v3, v3, v9
	v_div_scale_f32 v7, vcc, v9, v3, v9
	v_rcp_f32_e32 v16, v6
	v_fma_f32 v17, -v6, v16, 1.0
	v_fmac_f32_e32 v16, v17, v16
	v_mul_f32_e32 v17, v7, v16
	v_fma_f32 v18, -v6, v17, v7
	v_fmac_f32_e32 v17, v18, v16
	v_fma_f32 v6, -v6, v17, v7
	v_div_fmas_f32 v6, v6, v16, v17
	v_div_fixup_f32 v3, v6, v3, v9
	v_cvt_f16_f32_e32 v3, v3
                                        ; implicit-def: $vgpr6_vgpr7
	v_mul_f16_e32 v3, v4, v3
	v_cvt_f32_f16_e32 v3, v3
	v_mul_f32_e32 v3, v20, v3
	v_min_f32_e32 v3, 0x43e00000, v3
	v_max_f32_e32 v16, 0xc3e00000, v3
	v_and_b32_e32 v9, 0x7f800000, v16
	v_cmp_ne_u64_e32 vcc, s[12:13], v[9:10]
	s_and_saveexec_b64 s[0:1], vcc
	s_xor_b64 s[16:17], exec, s[0:1]
	s_cbranch_execz .LBB2_115
; %bb.102:                              ;   in Loop: Header=BB2_5 Depth=1
	v_and_b32_e32 v9, 0x7fffffff, v16
	v_cmp_gt_u64_e32 vcc, s[14:15], v[9:10]
	v_and_b32_sdwa v3, v16, s40 dst_sel:DWORD dst_unused:UNUSED_PAD src0_sel:BYTE_3 src1_sel:DWORD
                                        ; implicit-def: $vgpr6_vgpr7
	s_and_saveexec_b64 s[0:1], vcc
	s_xor_b64 s[18:19], exec, s[0:1]
	s_cbranch_execz .LBB2_112
; %bb.103:                              ;   in Loop: Header=BB2_5 Depth=1
	v_mov_b32_e32 v6, 0
	v_cmp_ne_u32_e32 vcc, 0, v16
	v_mov_b32_e32 v7, 0
	s_and_saveexec_b64 s[20:21], vcc
	s_cbranch_execz .LBB2_111
; %bb.104:                              ;   in Loop: Header=BB2_5 Depth=1
	v_bfe_u32 v18, v16, 23, 8
	v_sub_u32_e64 v6, s41, v18 clamp
	v_cmp_eq_u32_e32 vcc, 0, v18
	v_and_b32_e32 v9, 0x7fffff, v16
	v_cndmask_b32_e32 v29, v6, v27, vcc
	v_or_b32_e32 v16, 0x800000, v9
	v_add_u32_e32 v6, 20, v29
	v_lshlrev_b64 v[6:7], v6, -1
	v_cndmask_b32_e32 v9, v16, v9, vcc
	v_add_u32_e32 v16, 19, v29
	v_lshlrev_b64 v[16:17], v16, 1
	v_bfi_b32 v7, v7, 0, 0
	v_bfi_b32 v6, v6, 0, v9
	v_cmp_eq_u64_e64 s[0:1], v[6:7], v[16:17]
	v_lshrrev_b64 v[6:7], v29, v[9:10]
	v_add_u32_e32 v7, 0xffffff88, v18
	v_cndmask_b32_e32 v7, v7, v28, vcc
	v_lshrrev_b32_e32 v9, 23, v6
	v_add3_u32 v16, v7, v29, v9
	v_and_b32_e32 v9, 0x100000, v6
	v_cmp_eq_u64_e32 vcc, 0, v[9:10]
	v_add_u32_e32 v17, -1, v16
	s_and_b64 vcc, vcc, s[0:1]
	v_subbrev_co_u32_e32 v7, vcc, 0, v6, vcc
	v_and_b32_e32 v7, 0xfffff, v7
	v_add_u32_e32 v9, v7, v6
	v_cmp_ne_u32_e32 vcc, 0, v17
                                        ; implicit-def: $vgpr6_vgpr7
                                        ; implicit-def: $vgpr18
	s_and_saveexec_b64 s[0:1], vcc
	s_xor_b64 s[0:1], exec, s[0:1]
; %bb.105:                              ;   in Loop: Header=BB2_5 Depth=1
	v_and_b32_e32 v29, 0x1000000, v9
	v_mov_b32_e32 v30, v10
	v_bfe_u32 v6, v9, 24, 1
	v_cmp_eq_u64_e32 vcc, 0, v[29:30]
	v_lshrrev_b64 v[6:7], v6, v[9:10]
	v_cndmask_b32_e32 v18, v16, v17, vcc
; %bb.106:                              ;   in Loop: Header=BB2_5 Depth=1
	s_andn2_saveexec_b64 s[0:1], s[0:1]
; %bb.107:                              ;   in Loop: Header=BB2_5 Depth=1
	v_mov_b32_e32 v6, v9
	v_bfe_u32 v18, v9, 23, 1
	v_mov_b32_e32 v7, v10
; %bb.108:                              ;   in Loop: Header=BB2_5 Depth=1
	s_or_b64 exec, exec, s[0:1]
	v_lshrrev_b64 v[6:7], 20, v[6:7]
	v_cmp_gt_i32_e32 vcc, 16, v18
	v_cndmask_b32_e32 v17, 0, v7, vcc
	v_cndmask_b32_e32 v16, 7, v6, vcc
	v_cmp_ne_u64_e32 vcc, 0, v[16:17]
	v_cmp_ne_u32_e64 s[0:1], 0, v18
	v_mov_b32_e32 v7, v4
	s_or_b64 s[0:1], s[0:1], vcc
	v_mov_b32_e32 v6, v3
	s_and_saveexec_b64 s[46:47], s[0:1]
	s_xor_b64 s[0:1], exec, s[46:47]
; %bb.109:                              ;   in Loop: Header=BB2_5 Depth=1
	v_min_i32_e32 v6, 15, v18
	v_lshl_or_b32 v3, v6, 3, v3
	v_and_or_b32 v6, v16, 7, v3
; %bb.110:                              ;   in Loop: Header=BB2_5 Depth=1
	s_andn2_saveexec_b64 s[0:1], s[0:1]
	s_or_b64 exec, exec, s[0:1]
.LBB2_111:                              ;   in Loop: Header=BB2_5 Depth=1
	s_or_b64 exec, exec, s[20:21]
                                        ; implicit-def: $vgpr3
.LBB2_112:                              ;   in Loop: Header=BB2_5 Depth=1
	s_andn2_saveexec_b64 s[0:1], s[18:19]
; %bb.113:                              ;   in Loop: Header=BB2_5 Depth=1
	v_or_b32_e32 v6, 0x7e, v3
; %bb.114:                              ;   in Loop: Header=BB2_5 Depth=1
	s_or_b64 exec, exec, s[0:1]
                                        ; implicit-def: $vgpr16
.LBB2_115:                              ;   in Loop: Header=BB2_5 Depth=1
	s_andn2_saveexec_b64 s[0:1], s[16:17]
; %bb.116:                              ;   in Loop: Header=BB2_5 Depth=1
	v_or_b32_sdwa v6, v16, s42 dst_sel:DWORD dst_unused:UNUSED_PAD src0_sel:BYTE_3 src1_sel:DWORD
; %bb.117:                              ;   in Loop: Header=BB2_5 Depth=1
	s_or_b64 exec, exec, s[0:1]
	v_cvt_f32_f16_sdwa v3, -v8 dst_sel:DWORD dst_unused:UNUSED_PAD src0_sel:WORD_1
	v_mul_f32_e32 v7, 0x3fb8aa3b, v3
	v_rndne_f32_e32 v9, v7
	v_fma_mix_f32 v16, -v8, s9, -v7 op_sel:[1,0,0] op_sel_hi:[1,0,0]
	v_sub_f32_e32 v7, v7, v9
	v_fma_mix_f32 v16, -v8, s37, v16 op_sel:[1,0,0] op_sel_hi:[1,0,0]
	v_add_f32_e32 v7, v7, v16
	v_cvt_i32_f32_e32 v9, v9
	v_exp_f32_e32 v7, v7
	v_cvt_f32_f16_sdwa v8, v8 dst_sel:DWORD dst_unused:UNUSED_PAD src0_sel:WORD_1
	v_cmp_ngt_f32_e32 vcc, s38, v3
	v_ldexp_f32 v7, v7, v9
	v_cndmask_b32_e32 v7, 0, v7, vcc
	v_cmp_nlt_f32_e32 vcc, s39, v3
	v_cndmask_b32_e32 v3, v26, v7, vcc
	v_add_f32_e32 v3, 1.0, v3
	v_div_scale_f32 v7, s[0:1], v3, v3, v8
	v_div_scale_f32 v9, vcc, v8, v3, v8
	v_rcp_f32_e32 v16, v7
	v_fma_f32 v17, -v7, v16, 1.0
	v_fmac_f32_e32 v16, v17, v16
	v_mul_f32_e32 v17, v9, v16
	v_fma_f32 v18, -v7, v17, v9
	v_fmac_f32_e32 v17, v18, v16
	v_fma_f32 v7, -v7, v17, v9
	v_div_fmas_f32 v7, v7, v16, v17
	v_div_fixup_f32 v3, v7, v3, v8
	v_cvt_f16_f32_e32 v3, v3
                                        ; implicit-def: $vgpr7_vgpr8
	v_mul_f16_sdwa v3, v4, v3 dst_sel:DWORD dst_unused:UNUSED_PAD src0_sel:WORD_1 src1_sel:DWORD
	v_cvt_f32_f16_e32 v3, v3
	v_mul_f32_e32 v3, v20, v3
	v_min_f32_e32 v3, 0x43e00000, v3
	v_max_f32_e32 v4, 0xc3e00000, v3
	v_and_b32_e32 v9, 0x7f800000, v4
	v_cmp_ne_u64_e32 vcc, s[12:13], v[9:10]
	s_and_saveexec_b64 s[0:1], vcc
	s_xor_b64 s[16:17], exec, s[0:1]
	s_cbranch_execz .LBB2_131
; %bb.118:                              ;   in Loop: Header=BB2_5 Depth=1
	v_and_b32_e32 v9, 0x7fffffff, v4
	v_cmp_gt_u64_e32 vcc, s[14:15], v[9:10]
	v_and_b32_sdwa v3, v4, s40 dst_sel:DWORD dst_unused:UNUSED_PAD src0_sel:BYTE_3 src1_sel:DWORD
                                        ; implicit-def: $vgpr7_vgpr8
	s_and_saveexec_b64 s[0:1], vcc
	s_xor_b64 s[18:19], exec, s[0:1]
	s_cbranch_execz .LBB2_128
; %bb.119:                              ;   in Loop: Header=BB2_5 Depth=1
	v_mov_b32_e32 v7, 0
	v_cmp_ne_u32_e32 vcc, 0, v4
	v_mov_b32_e32 v8, 0
	s_and_saveexec_b64 s[20:21], vcc
	s_cbranch_execz .LBB2_127
; %bb.120:                              ;   in Loop: Header=BB2_5 Depth=1
	v_and_b32_e32 v9, 0x7fffff, v4
	v_bfe_u32 v4, v4, 23, 8
	v_sub_u32_e64 v7, s41, v4 clamp
	v_cmp_eq_u32_e32 vcc, 0, v4
	v_cndmask_b32_e32 v18, v7, v27, vcc
	v_or_b32_e32 v16, 0x800000, v9
	v_add_u32_e32 v7, 20, v18
	v_lshlrev_b64 v[7:8], v7, -1
	v_cndmask_b32_e32 v9, v16, v9, vcc
	v_add_u32_e32 v16, 19, v18
	v_lshlrev_b64 v[16:17], v16, 1
	v_bfi_b32 v8, v8, 0, 0
	v_bfi_b32 v7, v7, 0, v9
	v_cmp_eq_u64_e64 s[0:1], v[7:8], v[16:17]
	v_lshrrev_b64 v[7:8], v18, v[9:10]
	v_add_u32_e32 v4, 0xffffff88, v4
	v_and_b32_e32 v9, 0x100000, v7
	v_cndmask_b32_e32 v4, v4, v28, vcc
	v_cmp_eq_u64_e32 vcc, 0, v[9:10]
	v_lshrrev_b32_e32 v8, 23, v7
	s_and_b64 vcc, vcc, s[0:1]
	v_add3_u32 v16, v4, v18, v8
	v_subbrev_co_u32_e32 v4, vcc, 0, v7, vcc
	v_add_u32_e32 v17, -1, v16
	v_and_b32_e32 v4, 0xfffff, v4
	v_add_u32_e32 v9, v4, v7
	v_cmp_ne_u32_e32 vcc, 0, v17
                                        ; implicit-def: $vgpr7_vgpr8
                                        ; implicit-def: $vgpr4
	s_and_saveexec_b64 s[0:1], vcc
	s_xor_b64 s[0:1], exec, s[0:1]
; %bb.121:                              ;   in Loop: Header=BB2_5 Depth=1
	v_and_b32_e32 v29, 0x1000000, v9
	v_mov_b32_e32 v30, v10
	v_bfe_u32 v4, v9, 24, 1
	v_cmp_eq_u64_e32 vcc, 0, v[29:30]
	v_lshrrev_b64 v[7:8], v4, v[9:10]
	v_cndmask_b32_e32 v4, v16, v17, vcc
; %bb.122:                              ;   in Loop: Header=BB2_5 Depth=1
	s_andn2_saveexec_b64 s[0:1], s[0:1]
; %bb.123:                              ;   in Loop: Header=BB2_5 Depth=1
	v_mov_b32_e32 v7, v9
	v_bfe_u32 v4, v9, 23, 1
	v_mov_b32_e32 v8, v10
; %bb.124:                              ;   in Loop: Header=BB2_5 Depth=1
	s_or_b64 exec, exec, s[0:1]
	v_lshrrev_b64 v[7:8], 20, v[7:8]
	v_cmp_gt_i32_e32 vcc, 16, v4
	v_cndmask_b32_e32 v17, 0, v8, vcc
	v_cndmask_b32_e32 v16, 7, v7, vcc
	v_cmp_ne_u64_e32 vcc, 0, v[16:17]
	v_cmp_ne_u32_e64 s[0:1], 0, v4
	v_mov_b32_e32 v8, v4
	s_or_b64 s[0:1], s[0:1], vcc
	v_mov_b32_e32 v7, v3
	s_and_saveexec_b64 s[46:47], s[0:1]
	s_xor_b64 s[0:1], exec, s[46:47]
; %bb.125:                              ;   in Loop: Header=BB2_5 Depth=1
	v_min_i32_e32 v4, 15, v4
	v_lshl_or_b32 v3, v4, 3, v3
	v_and_or_b32 v7, v16, 7, v3
; %bb.126:                              ;   in Loop: Header=BB2_5 Depth=1
	s_andn2_saveexec_b64 s[0:1], s[0:1]
	s_or_b64 exec, exec, s[0:1]
.LBB2_127:                              ;   in Loop: Header=BB2_5 Depth=1
	s_or_b64 exec, exec, s[20:21]
                                        ; implicit-def: $vgpr3
.LBB2_128:                              ;   in Loop: Header=BB2_5 Depth=1
	s_andn2_saveexec_b64 s[0:1], s[18:19]
; %bb.129:                              ;   in Loop: Header=BB2_5 Depth=1
	v_or_b32_e32 v7, 0x7e, v3
; %bb.130:                              ;   in Loop: Header=BB2_5 Depth=1
	s_or_b64 exec, exec, s[0:1]
                                        ; implicit-def: $vgpr4
.LBB2_131:                              ;   in Loop: Header=BB2_5 Depth=1
	s_andn2_saveexec_b64 s[0:1], s[16:17]
	s_cbranch_execz .LBB2_4
; %bb.132:                              ;   in Loop: Header=BB2_5 Depth=1
	v_or_b32_sdwa v7, v4, s42 dst_sel:DWORD dst_unused:UNUSED_PAD src0_sel:BYTE_3 src1_sel:DWORD
	s_branch .LBB2_4
.LBB2_133:
	s_or_b64 exec, exec, s[4:5]
	s_sub_i32 s0, 8, s24
	s_cmp_gt_i32 s26, s0
	s_cbranch_scc0 .LBB2_162
; %bb.134:
	v_add_u32_e32 v0, s0, v0
	v_cmp_gt_i32_e32 vcc, s26, v0
	s_and_saveexec_b64 s[0:1], vcc
	s_cbranch_execz .LBB2_162
; %bb.135:
	v_mov_b32_e32 v1, 0
	s_load_dword s0, s[2:3], 0xc
	s_mov_b32 s27, 0
	v_add_u32_e32 v2, 1, v0
	v_mov_b32_e32 v3, v1
	v_cmp_lt_u64_e32 vcc, s[26:27], v[2:3]
	v_mov_b32_e32 v4, s26
	v_cndmask_b32_e32 v2, v4, v2, vcc
	v_sub_co_u32_e32 v2, vcc, v2, v0
	s_waitcnt lgkmcnt(0)
	s_and_b32 s33, s0, 0xffff
	v_subb_co_u32_e64 v3, s[0:1], 0, 0, vcc
	v_cmp_gt_u64_e32 vcc, 2, v[2:3]
	s_cmp_lg_u32 s33, 1
	s_cselect_b64 s[0:1], -1, 0
	s_or_b64 s[4:5], vcc, s[0:1]
	s_mov_b64 s[36:37], 0
	v_mov_b32_e32 v5, v3
                                        ; implicit-def: $sgpr2_sgpr3
                                        ; implicit-def: $sgpr0_sgpr1
	s_and_saveexec_b64 s[8:9], s[4:5]
	s_xor_b64 s[4:5], exec, s[8:9]
	s_cbranch_execz .LBB2_137
; %bb.136:
	s_lshl_b64 s[0:1], s[6:7], 2
	s_or_b32 s0, s0, 2
	s_mul_i32 s2, s0, s23
	s_mul_hi_u32 s3, s0, s22
	s_add_i32 s2, s3, s2
	s_mul_i32 s1, s1, s22
	s_mov_b64 s[36:37], exec
	s_add_i32 s3, s2, s1
	s_mul_i32 s2, s0, s22
	s_lshl_b64 s[0:1], s[34:35], 2
                                        ; implicit-def: $vgpr2_vgpr3
                                        ; implicit-def: $vgpr5
.LBB2_137:
	s_or_saveexec_b64 s[38:39], s[4:5]
	v_mov_b32_e32 v7, s3
	v_mov_b32_e32 v9, s1
	;; [unrolled: 1-line block ×4, first 2 shown]
	s_xor_b64 exec, exec, s[38:39]
	s_cbranch_execz .LBB2_141
; %bb.138:
	s_add_u32 s0, s28, s34
	s_addc_u32 s1, s29, s35
	v_mov_b32_e32 v7, s1
	v_add_co_u32_e32 v6, vcc, s0, v0
	s_lshl_b64 s[0:1], s[6:7], 2
	s_or_b32 s0, s0, 2
	s_mul_i32 s2, s0, s23
	s_mul_hi_u32 s3, s0, s22
	s_add_i32 s2, s3, s2
	s_mul_i32 s1, s1, s22
	s_add_i32 s41, s2, s1
	s_mul_i32 s40, s0, s22
	v_lshlrev_b64 v[10:11], 1, v[0:1]
	s_add_u32 s0, s30, s40
	v_addc_co_u32_e32 v7, vcc, 0, v7, vcc
	s_addc_u32 s1, s31, s41
	s_lshl_b64 s[42:43], s[34:35], 2
	v_mov_b32_e32 v1, s1
	v_add_co_u32_e32 v8, vcc, s0, v10
	s_add_u32 s0, s30, s42
	v_addc_co_u32_e32 v9, vcc, v1, v11, vcc
	s_addc_u32 s1, s31, s43
	v_and_b32_e32 v4, -2, v2
	v_mov_b32_e32 v1, s1
	v_add_co_u32_e32 v10, vcc, s0, v10
	v_mov_b32_e32 v15, v5
	v_addc_co_u32_e32 v11, vcc, v1, v11, vcc
	s_mov_b64 s[44:45], 0
	s_mov_b32 s46, 0x3fb8aa3b
	s_mov_b32 s47, 0x32a5705f
	;; [unrolled: 1-line block ×5, first 2 shown]
	v_mov_b32_e32 v1, 0x7f800000
	s_movk_i32 s51, 0x80
	s_mov_b32 s52, 0x43e00001
	s_movk_i32 s53, 0x79
	v_mov_b32_e32 v21, 0x78
	v_mov_b32_e32 v13, 0
	s_movk_i32 s54, 0xff88
	v_mov_b32_e32 v22, 0xffffff89
	s_movk_i32 s55, 0x7f
	v_mov_b32_e32 v14, v4
.LBB2_139:                              ; =>This Inner Loop Header: Depth=1
	global_load_dword v17, v[10:11], off
	global_load_dword v12, v[8:9], off
	s_waitcnt vmcnt(1)
	v_cvt_f32_f16_sdwa v19, -v17 dst_sel:DWORD dst_unused:UNUSED_PAD src0_sel:WORD_1
	v_cvt_f32_f16_e64 v23, -v17
	v_cvt_f32_f16_sdwa v16, v17 dst_sel:DWORD dst_unused:UNUSED_PAD src0_sel:WORD_1
	v_cvt_f32_f16_e32 v18, v17
	v_mul_f32_e32 v24, 0x3fb8aa3b, v19
	v_mul_f32_e32 v25, 0x3fb8aa3b, v23
	v_rndne_f32_e32 v26, v24
	v_fma_mix_f32 v27, -v17, s46, -v24 op_sel:[1,0,0] op_sel_hi:[1,0,0]
	v_rndne_f32_e32 v28, v25
	v_fma_mix_f32 v29, -v17, s46, -v25 op_sel_hi:[1,0,0]
	v_sub_f32_e32 v24, v24, v26
	v_fma_mix_f32 v27, -v17, s47, v27 op_sel:[1,0,0] op_sel_hi:[1,0,0]
	v_sub_f32_e32 v25, v25, v28
	v_fma_mix_f32 v17, -v17, s47, v29 op_sel_hi:[1,0,0]
	v_add_f32_e32 v24, v24, v27
	v_cvt_i32_f32_e32 v26, v26
	v_add_f32_e32 v17, v25, v17
	v_exp_f32_e32 v24, v24
	v_cvt_i32_f32_e32 v28, v28
	v_exp_f32_e32 v17, v17
	v_cmp_ngt_f32_e64 s[0:1], s48, v19
	v_ldexp_f32 v24, v24, v26
	v_cmp_ngt_f32_e32 vcc, s48, v23
	v_ldexp_f32 v17, v17, v28
	v_cndmask_b32_e64 v24, 0, v24, s[0:1]
	v_cmp_nlt_f32_e64 s[0:1], s49, v19
	v_cndmask_b32_e32 v17, 0, v17, vcc
	v_cmp_nlt_f32_e32 vcc, s49, v23
	v_cndmask_b32_e64 v23, v1, v24, s[0:1]
	v_cndmask_b32_e32 v17, v1, v17, vcc
	v_add_f32_e32 v23, 1.0, v23
	v_add_f32_e32 v19, 1.0, v17
	v_div_scale_f32 v17, s[0:1], v23, v23, v16
	v_div_scale_f32 v24, s[0:1], v19, v19, v18
	v_div_scale_f32 v25, vcc, v16, v23, v16
	v_div_scale_f32 v26, s[0:1], v18, v19, v18
	v_rcp_f32_e32 v27, v17
	v_rcp_f32_e32 v28, v24
	v_fma_f32 v29, -v17, v27, 1.0
	v_fmac_f32_e32 v27, v29, v27
	v_fma_f32 v30, -v24, v28, 1.0
	v_fmac_f32_e32 v28, v30, v28
	v_mul_f32_e32 v29, v25, v27
	v_mul_f32_e32 v30, v26, v28
	v_fma_f32 v31, -v17, v29, v25
	v_fmac_f32_e32 v29, v31, v27
	v_fma_f32 v31, -v24, v30, v26
	v_fmac_f32_e32 v30, v31, v28
	v_fma_f32 v25, -v17, v29, v25
	v_fma_f32 v24, -v24, v30, v26
	v_div_fmas_f32 v25, v25, v27, v29
	s_mov_b64 vcc, s[0:1]
	v_div_fmas_f32 v24, v24, v28, v30
	v_mov_b32_e32 v17, v13
	v_div_fixup_f32 v16, v25, v23, v16
	v_cvt_f16_f32_e32 v16, v16
	v_div_fixup_f32 v18, v24, v19, v18
	v_cvt_f16_f32_e32 v18, v18
	v_pack_b32_f16 v16, v18, v16
	s_waitcnt vmcnt(0)
	v_pk_mul_f16 v12, v12, v16
	v_cvt_f32_f16_e32 v16, v12
	v_cvt_f32_f16_sdwa v12, v12 dst_sel:DWORD dst_unused:UNUSED_PAD src0_sel:WORD_1
	v_mul_f32_e32 v16, v20, v16
	v_mul_f32_e32 v12, v20, v12
	v_min_f32_e32 v12, 0x43e00000, v12
	v_min_f32_e32 v16, 0x43e00000, v16
	v_max_f32_e32 v33, 0xc3e00000, v12
	v_max_f32_e32 v19, 0xc3e00000, v16
	v_lshrrev_b32_e32 v26, 23, v33
	v_and_b32_e32 v16, 0x7fffff, v19
	v_lshrrev_b32_e32 v25, 23, v19
	v_sub_u32_sdwa v23, s53, v26 clamp dst_sel:DWORD dst_unused:UNUSED_PAD src0_sel:DWORD src1_sel:BYTE_0
	v_cmp_eq_u32_sdwa s[4:5], v26, v13 src0_sel:BYTE_0 src1_sel:DWORD
	v_and_b32_e32 v12, 0x7fffff, v33
	v_sub_u32_sdwa v18, s53, v25 clamp dst_sel:DWORD dst_unused:UNUSED_PAD src0_sel:DWORD src1_sel:BYTE_0
	v_cmp_eq_u32_sdwa s[2:3], v25, v13 src0_sel:BYTE_0 src1_sel:DWORD
	v_or_b32_e32 v29, 0x800000, v16
	v_cndmask_b32_e64 v28, v23, v21, s[4:5]
	v_or_b32_e32 v24, 0x800000, v12
	v_cndmask_b32_e64 v27, v18, v21, s[2:3]
	v_cndmask_b32_e64 v18, v29, v16, s[2:3]
	v_add_u32_e32 v16, 20, v28
	v_cndmask_b32_e64 v12, v24, v12, s[4:5]
	v_lshlrev_b64 v[23:24], v16, -1
	v_add_u32_e32 v16, 19, v28
	v_lshlrev_b64 v[29:30], v16, 1
	v_bfi_b32 v24, v24, 0, 0
	v_bfi_b32 v23, v23, 0, v12
	v_add_u32_e32 v16, 20, v27
	v_cmp_eq_u64_e64 s[18:19], v[23:24], v[29:30]
	v_lshlrev_b64 v[23:24], v16, -1
	v_add_u32_e32 v16, 19, v27
	v_lshrrev_b64 v[31:32], v28, v[12:13]
	v_lshlrev_b64 v[29:30], v16, 1
	v_bfi_b32 v24, v24, 0, 0
	v_bfi_b32 v23, v23, 0, v18
	v_and_b32_e32 v16, 0x100000, v31
	v_and_b32_e32 v12, 0x7f800000, v33
	v_cmp_eq_u64_e64 s[20:21], v[23:24], v[29:30]
	v_and_b32_sdwa v23, v19, s51 dst_sel:DWORD dst_unused:UNUSED_PAD src0_sel:BYTE_3 src1_sel:DWORD
	v_and_b32_e32 v24, 0x7f800000, v19
	v_cmp_eq_u64_e64 s[22:23], 0, v[16:17]
	v_or_b32_sdwa v16, v19, s55 dst_sel:DWORD dst_unused:UNUSED_PAD src0_sel:BYTE_3 src1_sel:DWORD
	v_cmp_ne_u32_e64 s[10:11], s50, v12
	v_cmp_eq_u32_e32 vcc, 0, v19
	v_cmp_ne_u32_e64 s[8:9], 0, v19
	v_and_b32_e32 v12, 0x7fffffff, v19
	v_mov_b32_e32 v19, v13
	v_lshrrev_b64 v[18:19], v27, v[18:19]
	v_cmp_gt_u32_e64 s[12:13], s52, v12
	v_and_b32_e32 v12, 0x7fffffff, v33
	v_cmp_gt_u32_e64 s[16:17], s52, v12
	v_and_b32_e32 v12, 0x100000, v18
	v_cmp_eq_u64_e64 s[24:25], 0, v[12:13]
	s_and_b64 s[18:19], s[22:23], s[18:19]
	v_subbrev_co_u32_e64 v12, s[18:19], 0, v31, s[18:19]
	v_cmp_ne_u32_e64 s[6:7], s50, v24
	v_and_b32_sdwa v24, v33, s51 dst_sel:DWORD dst_unused:UNUSED_PAD src0_sel:BYTE_3 src1_sel:DWORD
	v_cmp_ne_u32_e64 s[14:15], 0, v33
	v_and_b32_e32 v12, 0xfffff, v12
	s_and_b64 s[18:19], s[24:25], s[20:21]
	v_add_u32_sdwa v26, v26, s54 dst_sel:DWORD dst_unused:UNUSED_PAD src0_sel:BYTE_0 src1_sel:DWORD
	v_add_u32_sdwa v25, v25, s54 dst_sel:DWORD dst_unused:UNUSED_PAD src0_sel:BYTE_0 src1_sel:DWORD
	v_or_b32_e32 v29, 0x7e, v23
	v_or_b32_sdwa v17, v33, s55 dst_sel:DWORD dst_unused:UNUSED_PAD src0_sel:BYTE_3 src1_sel:DWORD
	v_or_b32_e32 v30, 0x7e, v24
	v_cmp_eq_u32_e64 s[0:1], 0, v33
	v_add_u32_e32 v12, v12, v31
	v_lshrrev_b32_e32 v31, 23, v31
	v_subbrev_co_u32_e64 v19, s[18:19], 0, v18, s[18:19]
	v_lshrrev_b32_e32 v32, 23, v18
	v_cndmask_b32_e64 v26, v26, v22, s[4:5]
	v_cndmask_b32_e64 v25, v25, v22, s[2:3]
	s_and_b64 s[20:21], s[16:17], s[14:15]
	s_and_b64 s[16:17], s[10:11], s[16:17]
	v_and_b32_e32 v19, 0xfffff, v19
	v_add3_u32 v31, v26, v28, v31
	v_add3_u32 v32, v25, v27, v32
	v_mov_b32_e32 v26, v13
	v_cndmask_b32_e64 v27, v17, v30, s[10:11]
	v_and_b32_e32 v25, 0x1000000, v12
	s_and_b64 s[22:23], s[12:13], s[8:9]
	v_cndmask_b32_e64 v16, v16, v29, s[6:7]
	s_and_b64 s[12:13], s[6:7], s[12:13]
	s_and_b64 s[6:7], s[16:17], s[0:1]
	v_add_u32_e32 v18, v19, v18
	v_cmp_eq_u64_e64 s[4:5], 0, v[25:26]
	v_cndmask_b32_e64 v25, v27, 0, s[6:7]
	s_and_b64 s[6:7], s[12:13], vcc
	v_mov_b32_e32 v28, v13
	v_cndmask_b32_e64 v26, v16, 0, s[6:7]
	v_add_u32_e32 v16, -1, v32
	v_and_b32_e32 v27, 0x1000000, v18
	v_add_u32_e32 v30, -1, v31
	s_and_b64 s[18:19], s[12:13], s[8:9]
	v_cmp_eq_u32_e64 s[8:9], 0, v16
	v_cmp_eq_u64_e64 s[10:11], 0, v[27:28]
	v_cmp_eq_u32_e64 s[6:7], 0, v30
	v_bfe_u32 v27, v18, 24, 1
	v_cndmask_b32_e64 v30, v31, v30, s[4:5]
	v_lshrrev_b32_e32 v31, 23, v18
	s_and_b64 s[4:5], s[22:23], s[8:9]
	v_mov_b32_e32 v19, v13
	v_bfe_u32 v28, v12, 24, 1
	v_cndmask_b32_e64 v16, v32, v16, s[10:11]
	v_and_b32_e32 v31, 1, v31
	s_and_b64 s[6:7], s[20:21], s[6:7]
	v_cndmask_b32_e64 v27, v27, 0, s[4:5]
	v_lshrrev_b32_e32 v29, 23, v12
	v_cndmask_b32_e64 v16, v16, v31, s[4:5]
	v_cndmask_b32_e64 v28, v28, 0, s[6:7]
	v_lshrrev_b64 v[18:19], v27, v[18:19]
	v_and_b32_e32 v29, 1, v29
	v_lshrrev_b64 v[27:28], v28, v[12:13]
	v_min_i32_e32 v12, 15, v16
	v_cndmask_b32_e64 v29, v30, v29, s[6:7]
	v_lshlrev_b32_e32 v12, 3, v12
	v_lshrrev_b32_e32 v18, 20, v18
	v_cmp_gt_i32_e64 s[10:11], 16, v16
	v_lshrrev_b32_e32 v27, 20, v27
	v_cmp_gt_i32_e64 s[8:9], 16, v29
	v_or_b32_e32 v28, v12, v23
	v_cndmask_b32_e64 v12, 7, v18, s[10:11]
	v_mov_b32_e32 v17, v13
	v_cmp_eq_u32_e64 s[6:7], 0, v16
	v_cndmask_b32_e64 v16, 7, v27, s[8:9]
	v_cmp_eq_u64_e64 s[10:11], 0, v[12:13]
	v_cmp_eq_u64_e64 s[8:9], 0, v[16:17]
	v_add_co_u32_e64 v14, s[2:3], -2, v14
	v_cmp_eq_u32_e64 s[4:5], 0, v29
	v_min_i32_e32 v19, 15, v29
	s_and_b64 s[6:7], s[6:7], s[10:11]
	v_addc_co_u32_e64 v15, s[2:3], -1, v15, s[2:3]
	s_and_b64 s[14:15], s[16:17], s[14:15]
	v_lshlrev_b32_e32 v19, 3, v19
	s_and_b64 s[4:5], s[4:5], s[8:9]
	s_nor_b64 s[8:9], vcc, s[6:7]
	s_and_b64 vcc, s[18:19], s[6:7]
	v_add_co_u32_e64 v8, s[2:3], 4, v8
	v_or_b32_e32 v19, v19, v24
	s_nor_b64 s[0:1], s[0:1], s[4:5]
	v_cndmask_b32_e32 v17, v26, v23, vcc
	s_and_b64 vcc, s[14:15], s[4:5]
	v_addc_co_u32_e64 v9, s[2:3], 0, v9, s[2:3]
	v_and_or_b32 v16, v16, 7, v19
	v_cndmask_b32_e32 v18, v25, v24, vcc
	s_and_b64 vcc, s[16:17], s[0:1]
	v_add_co_u32_e64 v10, s[2:3], 4, v10
	v_and_or_b32 v12, v12, 7, v28
	v_cndmask_b32_e32 v16, v18, v16, vcc
	s_and_b64 vcc, s[12:13], s[8:9]
	v_addc_co_u32_e64 v11, s[2:3], 0, v11, s[2:3]
	v_cndmask_b32_e32 v12, v17, v12, vcc
	v_lshlrev_b16_e32 v16, 8, v16
	v_cmp_eq_u64_e64 s[2:3], 0, v[14:15]
	v_or_b32_sdwa v12, v12, v16 dst_sel:DWORD dst_unused:UNUSED_PAD src0_sel:BYTE_0 src1_sel:DWORD
	global_store_short v[6:7], v12, off
	v_add_co_u32_e32 v6, vcc, 2, v6
	s_or_b64 s[44:45], s[2:3], s[44:45]
	v_addc_co_u32_e32 v7, vcc, 0, v7, vcc
	s_andn2_b64 exec, exec, s[44:45]
	s_cbranch_execnz .LBB2_139
; %bb.140:
	s_or_b64 exec, exec, s[44:45]
	v_add_co_u32_e32 v0, vcc, v4, v0
	v_addc_co_u32_e32 v1, vcc, 0, v5, vcc
	v_cmp_ne_u64_e32 vcc, v[2:3], v[4:5]
	v_mov_b32_e32 v6, s40
	v_mov_b32_e32 v8, s42
	s_andn2_b64 s[0:1], s[36:37], exec
	s_and_b64 s[2:3], vcc, exec
	v_mov_b32_e32 v7, s41
	v_mov_b32_e32 v9, s43
	s_or_b64 s[36:37], s[0:1], s[2:3]
.LBB2_141:
	s_or_b64 exec, exec, s[38:39]
	s_and_b64 exec, exec, s[36:37]
	s_cbranch_execz .LBB2_162
; %bb.142:
	v_lshlrev_b64 v[2:3], 1, v[0:1]
	s_add_u32 s14, s28, s34
	v_mov_b32_e32 v4, s31
	v_add_co_u32_e32 v10, vcc, s30, v2
	s_addc_u32 s15, s29, s35
	v_addc_co_u32_e32 v11, vcc, v4, v3, vcc
	s_lshl_b32 s16, s33, 1
	s_mov_b64 s[2:3], 0
	s_mov_b32 s17, 0x3fb8aa3b
	s_mov_b32 s18, 0x32a5705f
	;; [unrolled: 1-line block ×4, first 2 shown]
	v_mov_b32_e32 v12, 0x7f800000
	v_mov_b32_e32 v3, 0
	s_mov_b64 s[4:5], 0x7f800000
	s_movk_i32 s21, 0x80
	s_mov_b64 s[6:7], 0x43e00001
	s_movk_i32 s22, 0x79
	s_movk_i32 s23, 0x7f
	v_mov_b32_e32 v13, 0x78
	v_mov_b32_e32 v14, 0xffffff89
	s_branch .LBB2_144
.LBB2_143:                              ;   in Loop: Header=BB2_144 Depth=1
	s_or_b64 exec, exec, s[0:1]
	v_mov_b32_e32 v5, s15
	v_add_co_u32_e32 v4, vcc, s14, v0
	v_addc_co_u32_e32 v5, vcc, v5, v1, vcc
	v_add_co_u32_e32 v0, vcc, s33, v0
	v_addc_co_u32_e32 v1, vcc, 0, v1, vcc
	v_cmp_le_u64_e32 vcc, s[26:27], v[0:1]
	global_store_byte v[4:5], v2, off
	s_or_b64 s[2:3], vcc, s[2:3]
	v_add_co_u32_e32 v10, vcc, s16, v10
	v_addc_co_u32_e32 v11, vcc, 0, v11, vcc
	s_andn2_b64 exec, exec, s[2:3]
	s_cbranch_execz .LBB2_162
.LBB2_144:                              ; =>This Inner Loop Header: Depth=1
	v_add_co_u32_e32 v4, vcc, v10, v8
	v_addc_co_u32_e32 v5, vcc, v11, v9, vcc
	global_load_ushort v2, v[4:5], off
	v_add_co_u32_e32 v4, vcc, v10, v6
	v_addc_co_u32_e32 v5, vcc, v11, v7, vcc
	global_load_ushort v4, v[4:5], off
	s_waitcnt vmcnt(1)
	v_cvt_f32_f16_e64 v5, -v2
	v_mul_f32_e32 v15, 0x3fb8aa3b, v5
	v_fma_mix_f32 v16, -v2, s17, -v15 op_sel_hi:[1,0,0]
	v_rndne_f32_e32 v17, v15
	v_fma_mix_f32 v16, -v2, s18, v16 op_sel_hi:[1,0,0]
	v_sub_f32_e32 v15, v15, v17
	v_add_f32_e32 v15, v15, v16
	v_cvt_i32_f32_e32 v17, v17
	v_exp_f32_e32 v15, v15
	v_cvt_f32_f16_e32 v2, v2
	v_cmp_ngt_f32_e32 vcc, s19, v5
	v_ldexp_f32 v15, v15, v17
	v_cndmask_b32_e32 v15, 0, v15, vcc
	v_cmp_nlt_f32_e32 vcc, s20, v5
	v_cndmask_b32_e32 v5, v12, v15, vcc
	v_add_f32_e32 v5, 1.0, v5
	v_div_scale_f32 v15, s[0:1], v5, v5, v2
	v_div_scale_f32 v16, vcc, v2, v5, v2
	v_rcp_f32_e32 v17, v15
	v_fma_f32 v18, -v15, v17, 1.0
	v_fmac_f32_e32 v17, v18, v17
	v_mul_f32_e32 v18, v16, v17
	v_fma_f32 v19, -v15, v18, v16
	v_fmac_f32_e32 v18, v19, v17
	v_fma_f32 v15, -v15, v18, v16
	v_div_fmas_f32 v15, v15, v17, v18
	v_div_fixup_f32 v2, v15, v5, v2
	v_cvt_f16_f32_e32 v2, v2
	s_waitcnt vmcnt(0)
	v_mul_f16_e32 v2, v4, v2
	v_cvt_f32_f16_e32 v2, v2
	v_mul_f32_e32 v2, v20, v2
	v_min_f32_e32 v2, 0x43e00000, v2
	v_max_f32_e32 v4, 0xc3e00000, v2
	v_and_b32_e32 v2, 0x7f800000, v4
	v_cmp_ne_u64_e32 vcc, s[4:5], v[2:3]
                                        ; implicit-def: $vgpr2
	s_and_saveexec_b64 s[0:1], vcc
	s_xor_b64 s[8:9], exec, s[0:1]
	s_cbranch_execz .LBB2_160
; %bb.145:                              ;   in Loop: Header=BB2_144 Depth=1
	v_and_b32_e32 v2, 0x7fffffff, v4
	v_cmp_gt_u64_e32 vcc, s[6:7], v[2:3]
	v_and_b32_sdwa v15, v4, s21 dst_sel:DWORD dst_unused:UNUSED_PAD src0_sel:BYTE_3 src1_sel:DWORD
                                        ; implicit-def: $vgpr2
	s_and_saveexec_b64 s[0:1], vcc
	s_xor_b64 s[10:11], exec, s[0:1]
	s_cbranch_execz .LBB2_157
; %bb.146:                              ;   in Loop: Header=BB2_144 Depth=1
	v_cmp_ne_u32_e32 vcc, 0, v4
	v_mov_b32_e32 v2, 0
	s_and_saveexec_b64 s[12:13], vcc
	s_cbranch_execz .LBB2_156
; %bb.147:                              ;   in Loop: Header=BB2_144 Depth=1
	v_bfe_u32 v18, v4, 23, 8
	v_and_b32_e32 v2, 0x7fffff, v4
	v_sub_u32_e64 v4, s22, v18 clamp
	v_cmp_eq_u32_e32 vcc, 0, v18
	v_cndmask_b32_e32 v19, v4, v13, vcc
	v_or_b32_e32 v16, 0x800000, v2
	v_add_u32_e32 v4, 20, v19
	v_lshlrev_b64 v[4:5], v4, -1
	v_cndmask_b32_e32 v2, v16, v2, vcc
	v_add_u32_e32 v16, 19, v19
	v_lshlrev_b64 v[16:17], v16, 1
	v_bfi_b32 v5, v5, 0, 0
	v_bfi_b32 v4, v4, 0, v2
	v_cmp_eq_u64_e64 s[0:1], v[4:5], v[16:17]
	v_lshrrev_b64 v[4:5], v19, v[2:3]
	v_add_u32_e32 v2, 0xffffff88, v18
	v_cndmask_b32_e32 v2, v2, v14, vcc
	v_lshrrev_b32_e32 v5, 23, v4
	v_add3_u32 v17, v2, v19, v5
	v_and_b32_e32 v2, 0x100000, v4
	v_cmp_eq_u64_e32 vcc, 0, v[2:3]
	v_add_u32_e32 v18, -1, v17
	s_and_b64 vcc, vcc, s[0:1]
	v_subbrev_co_u32_e32 v2, vcc, 0, v4, vcc
	v_and_b32_e32 v2, 0xfffff, v2
	v_add_u32_e32 v2, v2, v4
	v_cmp_ne_u32_e32 vcc, 0, v18
                                        ; implicit-def: $vgpr4_vgpr5
                                        ; implicit-def: $vgpr16
	s_and_saveexec_b64 s[0:1], vcc
	s_xor_b64 s[0:1], exec, s[0:1]
; %bb.148:                              ;   in Loop: Header=BB2_144 Depth=1
	v_and_b32_e32 v21, 0x1000000, v2
	v_mov_b32_e32 v22, v3
	v_cmp_eq_u64_e32 vcc, 0, v[21:22]
	v_bfe_u32 v4, v2, 24, 1
	v_lshrrev_b64 v[4:5], v4, v[2:3]
	v_cndmask_b32_e32 v16, v17, v18, vcc
; %bb.149:                              ;   in Loop: Header=BB2_144 Depth=1
	s_andn2_saveexec_b64 s[0:1], s[0:1]
; %bb.150:                              ;   in Loop: Header=BB2_144 Depth=1
	v_mov_b32_e32 v5, v3
	v_bfe_u32 v16, v2, 23, 1
	v_mov_b32_e32 v4, v2
; %bb.151:                              ;   in Loop: Header=BB2_144 Depth=1
	s_or_b64 exec, exec, s[0:1]
	v_lshrrev_b64 v[4:5], 20, v[4:5]
	v_cmp_gt_i32_e32 vcc, 16, v16
	v_cndmask_b32_e32 v5, 0, v5, vcc
	v_cndmask_b32_e32 v4, 7, v4, vcc
	v_cmp_ne_u64_e32 vcc, 0, v[4:5]
	v_cmp_ne_u32_e64 s[0:1], 0, v16
	s_or_b64 s[0:1], s[0:1], vcc
                                        ; implicit-def: $vgpr2
	s_and_saveexec_b64 s[24:25], s[0:1]
	s_xor_b64 s[0:1], exec, s[24:25]
; %bb.152:                              ;   in Loop: Header=BB2_144 Depth=1
	v_min_i32_e32 v2, 15, v16
	v_lshl_or_b32 v2, v2, 3, v15
	v_and_or_b32 v2, v4, 7, v2
                                        ; implicit-def: $vgpr15
; %bb.153:                              ;   in Loop: Header=BB2_144 Depth=1
	s_andn2_saveexec_b64 s[0:1], s[0:1]
; %bb.154:                              ;   in Loop: Header=BB2_144 Depth=1
	v_mov_b32_e32 v2, v15
; %bb.155:                              ;   in Loop: Header=BB2_144 Depth=1
	s_or_b64 exec, exec, s[0:1]
.LBB2_156:                              ;   in Loop: Header=BB2_144 Depth=1
	s_or_b64 exec, exec, s[12:13]
                                        ; implicit-def: $vgpr15
.LBB2_157:                              ;   in Loop: Header=BB2_144 Depth=1
	s_andn2_saveexec_b64 s[0:1], s[10:11]
; %bb.158:                              ;   in Loop: Header=BB2_144 Depth=1
	v_or_b32_e32 v2, 0x7e, v15
; %bb.159:                              ;   in Loop: Header=BB2_144 Depth=1
	s_or_b64 exec, exec, s[0:1]
                                        ; implicit-def: $vgpr4
.LBB2_160:                              ;   in Loop: Header=BB2_144 Depth=1
	s_andn2_saveexec_b64 s[0:1], s[8:9]
	s_cbranch_execz .LBB2_143
; %bb.161:                              ;   in Loop: Header=BB2_144 Depth=1
	v_or_b32_sdwa v2, v4, s23 dst_sel:DWORD dst_unused:UNUSED_PAD src0_sel:BYTE_3 src1_sel:DWORD
	s_branch .LBB2_143
.LBB2_162:
	s_endpgm
	.section	.rodata,"a",@progbits
	.p2align	6, 0x0
	.amdhsa_kernel _ZN4vllm24act_and_mul_quant_kernelIN3c104HalfETnPFT_RKS3_EXadL_ZNS_11silu_kernelIS2_EES3_S5_EENS1_13Float8_e4m3fnEEEvPT1_PS4_PKfi
		.amdhsa_group_segment_fixed_size 0
		.amdhsa_private_segment_fixed_size 0
		.amdhsa_kernarg_size 288
		.amdhsa_user_sgpr_count 6
		.amdhsa_user_sgpr_private_segment_buffer 1
		.amdhsa_user_sgpr_dispatch_ptr 0
		.amdhsa_user_sgpr_queue_ptr 0
		.amdhsa_user_sgpr_kernarg_segment_ptr 1
		.amdhsa_user_sgpr_dispatch_id 0
		.amdhsa_user_sgpr_flat_scratch_init 0
		.amdhsa_user_sgpr_private_segment_size 0
		.amdhsa_uses_dynamic_stack 0
		.amdhsa_system_sgpr_private_segment_wavefront_offset 0
		.amdhsa_system_sgpr_workgroup_id_x 1
		.amdhsa_system_sgpr_workgroup_id_y 1
		.amdhsa_system_sgpr_workgroup_id_z 0
		.amdhsa_system_sgpr_workgroup_info 0
		.amdhsa_system_vgpr_workitem_id 0
		.amdhsa_next_free_vgpr 34
		.amdhsa_next_free_sgpr 56
		.amdhsa_reserve_vcc 1
		.amdhsa_reserve_flat_scratch 0
		.amdhsa_float_round_mode_32 0
		.amdhsa_float_round_mode_16_64 0
		.amdhsa_float_denorm_mode_32 3
		.amdhsa_float_denorm_mode_16_64 3
		.amdhsa_dx10_clamp 1
		.amdhsa_ieee_mode 1
		.amdhsa_fp16_overflow 0
		.amdhsa_exception_fp_ieee_invalid_op 0
		.amdhsa_exception_fp_denorm_src 0
		.amdhsa_exception_fp_ieee_div_zero 0
		.amdhsa_exception_fp_ieee_overflow 0
		.amdhsa_exception_fp_ieee_underflow 0
		.amdhsa_exception_fp_ieee_inexact 0
		.amdhsa_exception_int_div_zero 0
	.end_amdhsa_kernel
	.section	.text._ZN4vllm24act_and_mul_quant_kernelIN3c104HalfETnPFT_RKS3_EXadL_ZNS_11silu_kernelIS2_EES3_S5_EENS1_13Float8_e4m3fnEEEvPT1_PS4_PKfi,"axG",@progbits,_ZN4vllm24act_and_mul_quant_kernelIN3c104HalfETnPFT_RKS3_EXadL_ZNS_11silu_kernelIS2_EES3_S5_EENS1_13Float8_e4m3fnEEEvPT1_PS4_PKfi,comdat
.Lfunc_end2:
	.size	_ZN4vllm24act_and_mul_quant_kernelIN3c104HalfETnPFT_RKS3_EXadL_ZNS_11silu_kernelIS2_EES3_S5_EENS1_13Float8_e4m3fnEEEvPT1_PS4_PKfi, .Lfunc_end2-_ZN4vllm24act_and_mul_quant_kernelIN3c104HalfETnPFT_RKS3_EXadL_ZNS_11silu_kernelIS2_EES3_S5_EENS1_13Float8_e4m3fnEEEvPT1_PS4_PKfi
                                        ; -- End function
	.set _ZN4vllm24act_and_mul_quant_kernelIN3c104HalfETnPFT_RKS3_EXadL_ZNS_11silu_kernelIS2_EES3_S5_EENS1_13Float8_e4m3fnEEEvPT1_PS4_PKfi.num_vgpr, 34
	.set _ZN4vllm24act_and_mul_quant_kernelIN3c104HalfETnPFT_RKS3_EXadL_ZNS_11silu_kernelIS2_EES3_S5_EENS1_13Float8_e4m3fnEEEvPT1_PS4_PKfi.num_agpr, 0
	.set _ZN4vllm24act_and_mul_quant_kernelIN3c104HalfETnPFT_RKS3_EXadL_ZNS_11silu_kernelIS2_EES3_S5_EENS1_13Float8_e4m3fnEEEvPT1_PS4_PKfi.numbered_sgpr, 56
	.set _ZN4vllm24act_and_mul_quant_kernelIN3c104HalfETnPFT_RKS3_EXadL_ZNS_11silu_kernelIS2_EES3_S5_EENS1_13Float8_e4m3fnEEEvPT1_PS4_PKfi.num_named_barrier, 0
	.set _ZN4vllm24act_and_mul_quant_kernelIN3c104HalfETnPFT_RKS3_EXadL_ZNS_11silu_kernelIS2_EES3_S5_EENS1_13Float8_e4m3fnEEEvPT1_PS4_PKfi.private_seg_size, 0
	.set _ZN4vllm24act_and_mul_quant_kernelIN3c104HalfETnPFT_RKS3_EXadL_ZNS_11silu_kernelIS2_EES3_S5_EENS1_13Float8_e4m3fnEEEvPT1_PS4_PKfi.uses_vcc, 1
	.set _ZN4vllm24act_and_mul_quant_kernelIN3c104HalfETnPFT_RKS3_EXadL_ZNS_11silu_kernelIS2_EES3_S5_EENS1_13Float8_e4m3fnEEEvPT1_PS4_PKfi.uses_flat_scratch, 0
	.set _ZN4vllm24act_and_mul_quant_kernelIN3c104HalfETnPFT_RKS3_EXadL_ZNS_11silu_kernelIS2_EES3_S5_EENS1_13Float8_e4m3fnEEEvPT1_PS4_PKfi.has_dyn_sized_stack, 0
	.set _ZN4vllm24act_and_mul_quant_kernelIN3c104HalfETnPFT_RKS3_EXadL_ZNS_11silu_kernelIS2_EES3_S5_EENS1_13Float8_e4m3fnEEEvPT1_PS4_PKfi.has_recursion, 0
	.set _ZN4vllm24act_and_mul_quant_kernelIN3c104HalfETnPFT_RKS3_EXadL_ZNS_11silu_kernelIS2_EES3_S5_EENS1_13Float8_e4m3fnEEEvPT1_PS4_PKfi.has_indirect_call, 0
	.section	.AMDGPU.csdata,"",@progbits
; Kernel info:
; codeLenInByte = 8528
; TotalNumSgprs: 60
; NumVgprs: 34
; ScratchSize: 0
; MemoryBound: 0
; FloatMode: 240
; IeeeMode: 1
; LDSByteSize: 0 bytes/workgroup (compile time only)
; SGPRBlocks: 7
; VGPRBlocks: 8
; NumSGPRsForWavesPerEU: 60
; NumVGPRsForWavesPerEU: 34
; Occupancy: 7
; WaveLimiterHint : 0
; COMPUTE_PGM_RSRC2:SCRATCH_EN: 0
; COMPUTE_PGM_RSRC2:USER_SGPR: 6
; COMPUTE_PGM_RSRC2:TRAP_HANDLER: 0
; COMPUTE_PGM_RSRC2:TGID_X_EN: 1
; COMPUTE_PGM_RSRC2:TGID_Y_EN: 1
; COMPUTE_PGM_RSRC2:TGID_Z_EN: 0
; COMPUTE_PGM_RSRC2:TIDIG_COMP_CNT: 0
	.section	.text._ZN4vllm24act_and_mul_quant_kernelIN3c104HalfETnPFT_RKS3_EXadL_ZNS_11silu_kernelIS2_EES3_S5_EENS1_15Float8_e4m3fnuzEEEvPT1_PS4_PKfi,"axG",@progbits,_ZN4vllm24act_and_mul_quant_kernelIN3c104HalfETnPFT_RKS3_EXadL_ZNS_11silu_kernelIS2_EES3_S5_EENS1_15Float8_e4m3fnuzEEEvPT1_PS4_PKfi,comdat
	.protected	_ZN4vllm24act_and_mul_quant_kernelIN3c104HalfETnPFT_RKS3_EXadL_ZNS_11silu_kernelIS2_EES3_S5_EENS1_15Float8_e4m3fnuzEEEvPT1_PS4_PKfi ; -- Begin function _ZN4vllm24act_and_mul_quant_kernelIN3c104HalfETnPFT_RKS3_EXadL_ZNS_11silu_kernelIS2_EES3_S5_EENS1_15Float8_e4m3fnuzEEEvPT1_PS4_PKfi
	.globl	_ZN4vllm24act_and_mul_quant_kernelIN3c104HalfETnPFT_RKS3_EXadL_ZNS_11silu_kernelIS2_EES3_S5_EENS1_15Float8_e4m3fnuzEEEvPT1_PS4_PKfi
	.p2align	8
	.type	_ZN4vllm24act_and_mul_quant_kernelIN3c104HalfETnPFT_RKS3_EXadL_ZNS_11silu_kernelIS2_EES3_S5_EENS1_15Float8_e4m3fnuzEEEvPT1_PS4_PKfi,@function
_ZN4vllm24act_and_mul_quant_kernelIN3c104HalfETnPFT_RKS3_EXadL_ZNS_11silu_kernelIS2_EES3_S5_EENS1_15Float8_e4m3fnuzEEEvPT1_PS4_PKfi: ; @_ZN4vllm24act_and_mul_quant_kernelIN3c104HalfETnPFT_RKS3_EXadL_ZNS_11silu_kernelIS2_EES3_S5_EENS1_15Float8_e4m3fnuzEEEvPT1_PS4_PKfi
; %bb.0:
	s_load_dword s1, s[4:5], 0x24
	s_add_u32 s12, s4, 32
	s_addc_u32 s13, s5, 0
	s_load_dword s30, s[4:5], 0x18
	s_load_dwordx4 s[8:11], s[4:5], 0x0
	s_mov_b32 s0, s7
	s_waitcnt lgkmcnt(0)
	s_abs_i32 s2, s1
	v_cvt_f32_u32_e32 v1, s2
	s_sub_i32 s7, 0, s2
	s_add_i32 s3, s30, s1
	s_add_i32 s3, s3, -1
	v_rcp_iflag_f32_e32 v1, v1
	s_xor_b32 s1, s3, s1
	s_abs_i32 s3, s3
	s_ashr_i32 s1, s1, 31
	v_mul_f32_e32 v1, 0x4f7ffffe, v1
	v_cvt_u32_f32_e32 v1, v1
	v_readfirstlane_b32 s14, v1
	s_mul_i32 s7, s7, s14
	s_mul_hi_u32 s7, s14, s7
	s_add_i32 s14, s14, s7
	s_mul_hi_u32 s7, s3, s14
	s_mul_i32 s14, s7, s2
	s_sub_i32 s3, s3, s14
	s_add_i32 s14, s7, 1
	s_sub_i32 s15, s3, s2
	s_cmp_ge_u32 s3, s2
	s_cselect_b32 s7, s14, s7
	s_cselect_b32 s3, s15, s3
	s_add_i32 s14, s7, 1
	s_cmp_ge_u32 s3, s2
	s_cselect_b32 s2, s14, s7
	s_xor_b32 s2, s2, s1
	s_sub_i32 s1, s2, s1
	s_and_b32 s2, s1, 7
	s_cmp_eq_u32 s2, 0
	s_mov_b32 s7, 0
	s_cbranch_scc1 .LBB3_2
; %bb.1:
	s_ashr_i32 s2, s1, 31
	s_lshr_b32 s2, s2, 29
	s_add_i32 s1, s1, s2
	s_and_b32 s1, s1, -8
	s_add_i32 s1, s1, 8
.LBB3_2:
	s_load_dwordx2 s[2:3], s[4:5], 0x10
	s_mul_i32 s14, s1, s0
	s_add_i32 s0, s14, s1
	s_ashr_i32 s31, s30, 31
	s_mul_i32 s4, s30, s6
	s_waitcnt lgkmcnt(0)
	s_load_dword s15, s[2:3], 0x0
	s_min_i32 s2, s0, s30
	s_abs_i32 s3, s2
	v_cvt_f32_u32_e32 v1, s3
	s_waitcnt lgkmcnt(0)
	v_div_scale_f32 v2, s[0:1], s15, s15, 1.0
	v_div_scale_f32 v3, vcc, 1.0, s15, 1.0
	v_rcp_iflag_f32_e32 v1, v1
	s_mul_hi_u32 s0, s30, s6
	s_mul_i32 s1, s31, s6
	s_add_i32 s5, s0, s1
	v_mul_f32_e32 v1, 0x4f7ffffe, v1
	v_cvt_u32_f32_e32 v1, v1
	s_sub_i32 s0, 0, s3
	v_readfirstlane_b32 s1, v1
	s_mul_i32 s0, s0, s1
	s_mul_hi_u32 s0, s1, s0
	v_rcp_f32_e32 v1, v2
	s_add_i32 s1, s1, s0
	s_lshr_b32 s0, s1, 29
	s_mul_i32 s0, s0, s3
	v_fma_f32 v4, -v2, v1, 1.0
	v_fmac_f32_e32 v1, v4, v1
	v_mul_f32_e32 v4, v3, v1
	v_fma_f32 v5, -v2, v4, v3
	v_fmac_f32_e32 v4, v5, v1
	v_fma_f32 v2, -v2, v4, v3
	v_div_fmas_f32 v1, v2, v1, v4
	s_sub_i32 s0, 8, s0
	s_sub_i32 s1, s0, s3
	s_cmp_ge_u32 s0, s3
	s_cselect_b32 s0, s1, s0
	s_sub_i32 s1, s0, s3
	s_cmp_ge_u32 s0, s3
	s_cselect_b32 s3, s1, s0
	s_cmp_eq_u32 s3, 0
	s_cselect_b64 s[0:1], -1, 0
	v_cndmask_b32_e64 v21, 0, 1, s[0:1]
	s_ashr_i32 s0, s14, 31
	s_lshr_b32 s0, s0, 29
	s_add_i32 s14, s14, s0
	s_ashr_i32 s0, s14, 3
	v_add_u32_e32 v22, s0, v0
	v_div_fixup_f32 v20, v1, s15, 1.0
	v_cmp_lt_i32_e32 vcc, v22, v21
	s_and_saveexec_b64 s[14:15], vcc
	s_cbranch_execz .LBB3_101
; %bb.3:
	s_load_dword s1, s[12:13], 0xc
	s_ashr_i32 s18, s0, 31
	v_add_co_u32_e32 v1, vcc, s0, v0
	v_mov_b32_e32 v2, s18
	s_waitcnt lgkmcnt(0)
	s_and_b32 s33, s1, 0xffff
	s_lshl_b64 s[0:1], s[6:7], 2
	s_or_b32 s0, s0, 2
	v_addc_co_u32_e32 v2, vcc, 0, v2, vcc
	s_mul_i32 s18, s0, s31
	s_mul_hi_u32 s19, s0, s30
	v_lshlrev_b64 v[3:4], 4, v[1:2]
	s_add_i32 s18, s19, s18
	s_mul_i32 s1, s1, s30
	s_lshl_b64 s[16:17], s[4:5], 2
	s_lshl_b32 s34, s33, 4
	s_add_i32 s1, s18, s1
	v_mov_b32_e32 v5, s11
	v_add_co_u32_e32 v23, vcc, s10, v3
	s_mul_i32 s35, s0, s30
	v_lshlrev_b64 v[1:2], 3, v[1:2]
	s_add_u32 s0, s8, s4
	v_addc_co_u32_e32 v24, vcc, v5, v4, vcc
	s_addc_u32 s18, s9, s5
	v_mov_b32_e32 v3, s18
	v_add_co_u32_e32 v11, vcc, s0, v1
	v_mov_b32_e32 v10, 0
	v_addc_co_u32_e32 v12, vcc, v3, v2, vcc
	s_lshl_b32 s36, s33, 3
	s_mov_b64 s[18:19], 0
	v_mov_b32_e32 v25, s17
	v_mov_b32_e32 v26, s1
	s_mov_b32 s17, 0x3fb8aa3b
	s_mov_b32 s37, 0x32a5705f
	;; [unrolled: 1-line block ×4, first 2 shown]
	v_mov_b32_e32 v27, 0x7f800000
	s_mov_b64 s[20:21], 0x7f800000
	s_mov_b64 s[22:23], 0x43700001
	s_movk_i32 s40, 0x78
	s_movk_i32 s41, 0x80
	;; [unrolled: 1-line block ×3, first 2 shown]
	s_mov_b32 s43, 0xff00
	s_mov_b32 s44, 0x4020c0c
	v_mov_b32_e32 v28, 0x77
	v_mov_b32_e32 v29, 0xffffff8a
	s_branch .LBB3_6
.LBB3_4:                                ;   in Loop: Header=BB3_6 Depth=1
	s_or_b64 exec, exec, s[0:1]
.LBB3_5:                                ;   in Loop: Header=BB3_6 Depth=1
	s_or_b64 exec, exec, s[24:25]
	v_lshlrev_b32_e32 v3, 16, v6
	v_lshlrev_b32_e32 v2, 24, v2
	v_and_b32_e32 v3, 0xff0000, v3
	v_lshlrev_b32_e32 v1, 8, v1
	v_or_b32_e32 v2, v2, v3
	v_and_b32_e32 v1, 0xff00, v1
	v_and_b32_e32 v3, 0xff, v5
	v_or3_b32 v2, v2, v1, v3
	v_lshlrev_b32_e32 v1, 16, v18
	v_lshlrev_b32_e32 v3, 8, v13
	v_perm_b32 v1, v16, v1, s44
	v_add_co_u32_e32 v23, vcc, s34, v23
	v_and_or_b32 v1, v3, s43, v1
	v_add_u32_e32 v22, s33, v22
	v_addc_co_u32_e32 v24, vcc, 0, v24, vcc
	v_or_b32_sdwa v1, v1, v15 dst_sel:DWORD dst_unused:UNUSED_PAD src0_sel:DWORD src1_sel:BYTE_0
	v_cmp_ge_i32_e32 vcc, v22, v21
	global_store_dwordx2 v[11:12], v[1:2], off
	s_or_b64 s[18:19], vcc, s[18:19]
	v_add_co_u32_e32 v11, vcc, s36, v11
	v_addc_co_u32_e32 v12, vcc, 0, v12, vcc
	s_andn2_b64 exec, exec, s[18:19]
	s_cbranch_execz .LBB3_101
.LBB3_6:                                ; =>This Inner Loop Header: Depth=1
	v_add_co_u32_e32 v1, vcc, s16, v23
	v_addc_co_u32_e32 v2, vcc, v24, v25, vcc
	global_load_dwordx4 v[1:4], v[1:2], off
	v_add_co_u32_e32 v5, vcc, s35, v23
	v_addc_co_u32_e32 v6, vcc, v24, v26, vcc
	global_load_dwordx4 v[5:8], v[5:6], off
	s_waitcnt vmcnt(1)
	v_cvt_f32_f16_e64 v9, -v1
	v_mul_f32_e32 v13, 0x3fb8aa3b, v9
	v_fma_mix_f32 v14, -v1, s17, -v13 op_sel_hi:[1,0,0]
	v_rndne_f32_e32 v15, v13
	v_fma_mix_f32 v14, -v1, s37, v14 op_sel_hi:[1,0,0]
	v_sub_f32_e32 v13, v13, v15
	v_add_f32_e32 v13, v13, v14
	v_cvt_i32_f32_e32 v15, v15
	v_exp_f32_e32 v13, v13
	v_cvt_f32_f16_e32 v14, v1
	v_cmp_ngt_f32_e32 vcc, s38, v9
	v_ldexp_f32 v13, v13, v15
	v_cndmask_b32_e32 v13, 0, v13, vcc
	v_cmp_nlt_f32_e32 vcc, s39, v9
	v_cndmask_b32_e32 v9, v27, v13, vcc
	v_add_f32_e32 v9, 1.0, v9
	v_div_scale_f32 v13, s[0:1], v9, v9, v14
	v_div_scale_f32 v15, vcc, v14, v9, v14
	v_rcp_f32_e32 v16, v13
	v_fma_f32 v17, -v13, v16, 1.0
	v_fmac_f32_e32 v16, v17, v16
	v_mul_f32_e32 v17, v15, v16
	v_fma_f32 v18, -v13, v17, v15
	v_fmac_f32_e32 v17, v18, v16
	v_fma_f32 v13, -v13, v17, v15
	v_div_fmas_f32 v13, v13, v16, v17
	v_mov_b32_e32 v15, 0x80
	v_mov_b32_e32 v16, 0
	v_div_fixup_f32 v9, v13, v9, v14
	v_cvt_f16_f32_e32 v9, v9
	v_mov_b32_e32 v13, 0x80
	v_mov_b32_e32 v14, 0
	s_waitcnt vmcnt(0)
	v_mul_f16_e32 v9, v5, v9
	v_cvt_f32_f16_e32 v9, v9
	v_mul_f32_e32 v9, v20, v9
	v_min_f32_e32 v9, 0x43600000, v9
	v_max_f32_e32 v17, 0xc3600000, v9
	v_and_b32_e32 v9, 0x7f800000, v17
	v_cmp_ne_u64_e32 vcc, s[20:21], v[9:10]
	s_and_saveexec_b64 s[24:25], vcc
	s_cbranch_execz .LBB3_18
; %bb.7:                                ;   in Loop: Header=BB3_6 Depth=1
	v_and_b32_e32 v9, 0x7fffffff, v17
	v_cmp_gt_u64_e32 vcc, s[22:23], v[9:10]
                                        ; implicit-def: $vgpr15_vgpr16
	s_and_saveexec_b64 s[0:1], vcc
	s_xor_b64 s[26:27], exec, s[0:1]
	s_cbranch_execz .LBB3_15
; %bb.8:                                ;   in Loop: Header=BB3_6 Depth=1
	v_mov_b32_e32 v15, 0
	v_cmp_ne_u32_e32 vcc, 0, v17
	v_mov_b32_e32 v16, 0
	s_and_saveexec_b64 s[28:29], vcc
	s_cbranch_execz .LBB3_14
; %bb.9:                                ;   in Loop: Header=BB3_6 Depth=1
	v_bfe_u32 v16, v17, 23, 8
	v_sub_u32_e64 v14, s40, v16 clamp
	v_cmp_eq_u32_e32 vcc, 0, v16
	v_and_b32_e32 v9, 0x7fffff, v17
	v_cndmask_b32_e32 v30, v14, v28, vcc
	v_or_b32_e32 v18, 0x800000, v9
	v_add_u32_e32 v14, 20, v30
	v_lshlrev_b64 v[14:15], v14, -1
	v_cndmask_b32_e32 v9, v18, v9, vcc
	v_add_u32_e32 v18, 19, v30
	v_lshlrev_b64 v[18:19], v18, 1
	v_bfi_b32 v15, v15, 0, 0
	v_bfi_b32 v14, v14, 0, v9
	v_cmp_eq_u64_e64 s[0:1], v[14:15], v[18:19]
	v_lshrrev_b64 v[14:15], v30, v[9:10]
	v_add_u32_e32 v9, 0xffffff89, v16
	v_cndmask_b32_e32 v9, v9, v29, vcc
	v_lshrrev_b32_e32 v15, 23, v14
	v_add3_u32 v18, v9, v30, v15
	v_and_b32_e32 v9, 0x100000, v14
	v_cmp_eq_u64_e32 vcc, 0, v[9:10]
	v_add_u32_e32 v19, -1, v18
	s_and_b64 vcc, vcc, s[0:1]
	v_subbrev_co_u32_e32 v9, vcc, 0, v14, vcc
	v_and_b32_e32 v9, 0xfffff, v9
	v_add_u32_e32 v9, v9, v14
	v_cmp_ne_u32_e32 vcc, 0, v19
                                        ; implicit-def: $vgpr14_vgpr15
                                        ; implicit-def: $vgpr16
	s_and_saveexec_b64 s[0:1], vcc
	s_xor_b64 s[0:1], exec, s[0:1]
; %bb.10:                               ;   in Loop: Header=BB3_6 Depth=1
	v_and_b32_e32 v30, 0x1000000, v9
	v_mov_b32_e32 v31, v10
	v_cmp_eq_u64_e32 vcc, 0, v[30:31]
	v_bfe_u32 v14, v9, 24, 1
	v_lshrrev_b64 v[14:15], v14, v[9:10]
	v_cndmask_b32_e32 v16, v18, v19, vcc
; %bb.11:                               ;   in Loop: Header=BB3_6 Depth=1
	s_andn2_saveexec_b64 s[0:1], s[0:1]
; %bb.12:                               ;   in Loop: Header=BB3_6 Depth=1
	v_mov_b32_e32 v15, v10
	v_bfe_u32 v16, v9, 23, 1
	v_mov_b32_e32 v14, v9
; %bb.13:                               ;   in Loop: Header=BB3_6 Depth=1
	s_or_b64 exec, exec, s[0:1]
	v_lshrrev_b64 v[14:15], 20, v[14:15]
	v_cmp_gt_i32_e32 vcc, 16, v16
	v_cndmask_b32_e32 v15, 0, v15, vcc
	v_cndmask_b32_e32 v14, 7, v14, vcc
	v_and_b32_sdwa v9, v17, s41 dst_sel:DWORD dst_unused:UNUSED_PAD src0_sel:BYTE_3 src1_sel:DWORD
	v_min_i32_e32 v17, 15, v16
	v_cmp_eq_u64_e64 s[0:1], 0, v[14:15]
	v_cmp_eq_u32_e32 vcc, 0, v16
	v_lshl_or_b32 v9, v17, 3, v9
	v_and_or_b32 v9, v14, 7, v9
	s_and_b64 s[0:1], vcc, s[0:1]
	v_cndmask_b32_e64 v15, v9, 0, s[0:1]
.LBB3_14:                               ;   in Loop: Header=BB3_6 Depth=1
	s_or_b64 exec, exec, s[28:29]
                                        ; implicit-def: $vgpr17
.LBB3_15:                               ;   in Loop: Header=BB3_6 Depth=1
	s_andn2_saveexec_b64 s[0:1], s[26:27]
; %bb.16:                               ;   in Loop: Header=BB3_6 Depth=1
	v_or_b32_sdwa v15, v17, s42 dst_sel:DWORD dst_unused:UNUSED_PAD src0_sel:BYTE_3 src1_sel:DWORD
; %bb.17:                               ;   in Loop: Header=BB3_6 Depth=1
	s_or_b64 exec, exec, s[0:1]
.LBB3_18:                               ;   in Loop: Header=BB3_6 Depth=1
	s_or_b64 exec, exec, s[24:25]
	v_cvt_f32_f16_sdwa v9, -v1 dst_sel:DWORD dst_unused:UNUSED_PAD src0_sel:WORD_1
	v_mul_f32_e32 v14, 0x3fb8aa3b, v9
	v_rndne_f32_e32 v16, v14
	v_fma_mix_f32 v17, -v1, s17, -v14 op_sel:[1,0,0] op_sel_hi:[1,0,0]
	v_sub_f32_e32 v14, v14, v16
	v_fma_mix_f32 v17, -v1, s37, v17 op_sel:[1,0,0] op_sel_hi:[1,0,0]
	v_add_f32_e32 v14, v14, v17
	v_cvt_i32_f32_e32 v16, v16
	v_exp_f32_e32 v14, v14
	v_cvt_f32_f16_sdwa v1, v1 dst_sel:DWORD dst_unused:UNUSED_PAD src0_sel:WORD_1
	v_cmp_ngt_f32_e32 vcc, s38, v9
	v_ldexp_f32 v14, v14, v16
	v_cndmask_b32_e32 v14, 0, v14, vcc
	v_cmp_nlt_f32_e32 vcc, s39, v9
	v_cndmask_b32_e32 v9, v27, v14, vcc
	v_add_f32_e32 v9, 1.0, v9
	v_div_scale_f32 v14, s[0:1], v9, v9, v1
	v_div_scale_f32 v16, vcc, v1, v9, v1
	v_rcp_f32_e32 v17, v14
	v_fma_f32 v18, -v14, v17, 1.0
	v_fmac_f32_e32 v17, v18, v17
	v_mul_f32_e32 v18, v16, v17
	v_fma_f32 v19, -v14, v18, v16
	v_fmac_f32_e32 v18, v19, v17
	v_fma_f32 v14, -v14, v18, v16
	v_div_fmas_f32 v14, v14, v17, v18
	v_div_fixup_f32 v1, v14, v9, v1
	v_cvt_f16_f32_e32 v1, v1
	v_mul_f16_sdwa v1, v5, v1 dst_sel:DWORD dst_unused:UNUSED_PAD src0_sel:WORD_1 src1_sel:DWORD
	v_cvt_f32_f16_e32 v1, v1
	v_mul_f32_e32 v1, v20, v1
	v_min_f32_e32 v1, 0x43600000, v1
	v_max_f32_e32 v1, 0xc3600000, v1
	v_and_b32_e32 v9, 0x7f800000, v1
	v_cmp_ne_u64_e32 vcc, s[20:21], v[9:10]
	s_and_saveexec_b64 s[24:25], vcc
	s_cbranch_execz .LBB3_30
; %bb.19:                               ;   in Loop: Header=BB3_6 Depth=1
	v_and_b32_e32 v9, 0x7fffffff, v1
	v_cmp_gt_u64_e32 vcc, s[22:23], v[9:10]
                                        ; implicit-def: $vgpr13_vgpr14
	s_and_saveexec_b64 s[0:1], vcc
	s_xor_b64 s[26:27], exec, s[0:1]
	s_cbranch_execz .LBB3_27
; %bb.20:                               ;   in Loop: Header=BB3_6 Depth=1
	v_mov_b32_e32 v13, 0
	v_cmp_ne_u32_e32 vcc, 0, v1
	v_mov_b32_e32 v14, 0
	s_and_saveexec_b64 s[28:29], vcc
	s_cbranch_execz .LBB3_26
; %bb.21:                               ;   in Loop: Header=BB3_6 Depth=1
	v_bfe_u32 v18, v1, 23, 8
	v_sub_u32_e64 v9, s40, v18 clamp
	v_cmp_eq_u32_e32 vcc, 0, v18
	v_and_b32_e32 v5, 0x7fffff, v1
	v_cndmask_b32_e32 v19, v9, v28, vcc
	v_or_b32_e32 v16, 0x800000, v5
	v_add_u32_e32 v9, 20, v19
	v_lshlrev_b64 v[13:14], v9, -1
	v_cndmask_b32_e32 v9, v16, v5, vcc
	v_add_u32_e32 v5, 19, v19
	v_lshlrev_b64 v[16:17], v5, 1
	v_bfi_b32 v14, v14, 0, 0
	v_bfi_b32 v13, v13, 0, v9
	v_cmp_eq_u64_e64 s[0:1], v[13:14], v[16:17]
	v_lshrrev_b64 v[13:14], v19, v[9:10]
	v_add_u32_e32 v5, 0xffffff89, v18
	v_cndmask_b32_e32 v5, v5, v29, vcc
	v_lshrrev_b32_e32 v9, 23, v13
	v_add3_u32 v16, v5, v19, v9
	v_and_b32_e32 v9, 0x100000, v13
	v_cmp_eq_u64_e32 vcc, 0, v[9:10]
	v_add_u32_e32 v17, -1, v16
	s_and_b64 vcc, vcc, s[0:1]
	v_subbrev_co_u32_e32 v5, vcc, 0, v13, vcc
	v_and_b32_e32 v5, 0xfffff, v5
	v_add_u32_e32 v9, v5, v13
	v_cmp_ne_u32_e32 vcc, 0, v17
                                        ; implicit-def: $vgpr13_vgpr14
                                        ; implicit-def: $vgpr5
	s_and_saveexec_b64 s[0:1], vcc
	s_xor_b64 s[0:1], exec, s[0:1]
; %bb.22:                               ;   in Loop: Header=BB3_6 Depth=1
	v_and_b32_e32 v18, 0x1000000, v9
	v_mov_b32_e32 v19, v10
	v_bfe_u32 v5, v9, 24, 1
	v_cmp_eq_u64_e32 vcc, 0, v[18:19]
	v_lshrrev_b64 v[13:14], v5, v[9:10]
	v_cndmask_b32_e32 v5, v16, v17, vcc
; %bb.23:                               ;   in Loop: Header=BB3_6 Depth=1
	s_andn2_saveexec_b64 s[0:1], s[0:1]
; %bb.24:                               ;   in Loop: Header=BB3_6 Depth=1
	v_mov_b32_e32 v14, v10
	v_bfe_u32 v5, v9, 23, 1
	v_mov_b32_e32 v13, v9
; %bb.25:                               ;   in Loop: Header=BB3_6 Depth=1
	s_or_b64 exec, exec, s[0:1]
	v_lshrrev_b64 v[13:14], 20, v[13:14]
	v_cmp_gt_i32_e32 vcc, 16, v5
	v_cndmask_b32_e32 v14, 0, v14, vcc
	v_cndmask_b32_e32 v13, 7, v13, vcc
	v_and_b32_sdwa v1, v1, s41 dst_sel:DWORD dst_unused:UNUSED_PAD src0_sel:BYTE_3 src1_sel:DWORD
	v_min_i32_e32 v9, 15, v5
	v_cmp_eq_u64_e64 s[0:1], 0, v[13:14]
	v_cmp_eq_u32_e32 vcc, 0, v5
	v_lshl_or_b32 v1, v9, 3, v1
	v_and_or_b32 v1, v13, 7, v1
	s_and_b64 s[0:1], vcc, s[0:1]
	v_cndmask_b32_e64 v13, v1, 0, s[0:1]
.LBB3_26:                               ;   in Loop: Header=BB3_6 Depth=1
	s_or_b64 exec, exec, s[28:29]
                                        ; implicit-def: $vgpr1
.LBB3_27:                               ;   in Loop: Header=BB3_6 Depth=1
	s_andn2_saveexec_b64 s[0:1], s[26:27]
; %bb.28:                               ;   in Loop: Header=BB3_6 Depth=1
	v_or_b32_sdwa v13, v1, s42 dst_sel:DWORD dst_unused:UNUSED_PAD src0_sel:BYTE_3 src1_sel:DWORD
; %bb.29:                               ;   in Loop: Header=BB3_6 Depth=1
	s_or_b64 exec, exec, s[0:1]
.LBB3_30:                               ;   in Loop: Header=BB3_6 Depth=1
	s_or_b64 exec, exec, s[24:25]
	v_cvt_f32_f16_e64 v1, -v2
	v_mul_f32_e32 v5, 0x3fb8aa3b, v1
	v_rndne_f32_e32 v9, v5
	v_fma_mix_f32 v14, -v2, s17, -v5 op_sel_hi:[1,0,0]
	v_sub_f32_e32 v5, v5, v9
	v_fma_mix_f32 v14, -v2, s37, v14 op_sel_hi:[1,0,0]
	v_add_f32_e32 v5, v5, v14
	v_cvt_i32_f32_e32 v9, v9
	v_exp_f32_e32 v5, v5
	v_cvt_f32_f16_e32 v14, v2
	v_cmp_ngt_f32_e32 vcc, s38, v1
	v_ldexp_f32 v5, v5, v9
	v_cndmask_b32_e32 v5, 0, v5, vcc
	v_cmp_nlt_f32_e32 vcc, s39, v1
	v_cndmask_b32_e32 v1, v27, v5, vcc
	v_add_f32_e32 v1, 1.0, v1
	v_div_scale_f32 v5, s[0:1], v1, v1, v14
	v_div_scale_f32 v9, vcc, v14, v1, v14
	v_rcp_f32_e32 v16, v5
	v_fma_f32 v17, -v5, v16, 1.0
	v_fmac_f32_e32 v16, v17, v16
	v_mul_f32_e32 v17, v9, v16
	v_fma_f32 v18, -v5, v17, v9
	v_fmac_f32_e32 v17, v18, v16
	v_fma_f32 v5, -v5, v17, v9
	v_div_fmas_f32 v5, v5, v16, v17
	v_mov_b32_e32 v16, 0x80
	v_mov_b32_e32 v18, 0x80
	;; [unrolled: 1-line block ×4, first 2 shown]
	v_div_fixup_f32 v1, v5, v1, v14
	v_cvt_f16_f32_e32 v1, v1
	v_mul_f16_e32 v1, v6, v1
	v_cvt_f32_f16_e32 v1, v1
	v_mul_f32_e32 v1, v20, v1
	v_min_f32_e32 v1, 0x43600000, v1
	v_max_f32_e32 v1, 0xc3600000, v1
	v_and_b32_e32 v9, 0x7f800000, v1
	v_cmp_ne_u64_e32 vcc, s[20:21], v[9:10]
	s_and_saveexec_b64 s[24:25], vcc
	s_cbranch_execz .LBB3_42
; %bb.31:                               ;   in Loop: Header=BB3_6 Depth=1
	v_and_b32_e32 v9, 0x7fffffff, v1
	v_cmp_gt_u64_e32 vcc, s[22:23], v[9:10]
                                        ; implicit-def: $vgpr18_vgpr19
	s_and_saveexec_b64 s[0:1], vcc
	s_xor_b64 s[26:27], exec, s[0:1]
	s_cbranch_execz .LBB3_39
; %bb.32:                               ;   in Loop: Header=BB3_6 Depth=1
	v_mov_b32_e32 v18, 0
	v_cmp_ne_u32_e32 vcc, 0, v1
	v_mov_b32_e32 v19, 0
	s_and_saveexec_b64 s[28:29], vcc
	s_cbranch_execz .LBB3_38
; %bb.33:                               ;   in Loop: Header=BB3_6 Depth=1
	v_bfe_u32 v14, v1, 23, 8
	v_sub_u32_e64 v9, s40, v14 clamp
	v_cmp_eq_u32_e32 vcc, 0, v14
	v_and_b32_e32 v5, 0x7fffff, v1
	v_cndmask_b32_e32 v32, v9, v28, vcc
	v_or_b32_e32 v19, 0x800000, v5
	v_add_u32_e32 v9, 20, v32
	v_lshlrev_b64 v[17:18], v9, -1
	v_cndmask_b32_e32 v9, v19, v5, vcc
	v_add_u32_e32 v5, 19, v32
	v_lshlrev_b64 v[30:31], v5, 1
	v_bfi_b32 v18, v18, 0, 0
	v_bfi_b32 v17, v17, 0, v9
	v_cmp_eq_u64_e64 s[0:1], v[17:18], v[30:31]
	v_lshrrev_b64 v[17:18], v32, v[9:10]
	v_add_u32_e32 v5, 0xffffff89, v14
	v_cndmask_b32_e32 v5, v5, v29, vcc
	v_lshrrev_b32_e32 v9, 23, v17
	v_add3_u32 v14, v5, v32, v9
	v_and_b32_e32 v9, 0x100000, v17
	v_cmp_eq_u64_e32 vcc, 0, v[9:10]
	v_add_u32_e32 v19, -1, v14
	s_and_b64 vcc, vcc, s[0:1]
	v_subbrev_co_u32_e32 v5, vcc, 0, v17, vcc
	v_and_b32_e32 v5, 0xfffff, v5
	v_add_u32_e32 v9, v5, v17
	v_cmp_ne_u32_e32 vcc, 0, v19
                                        ; implicit-def: $vgpr17_vgpr18
                                        ; implicit-def: $vgpr5
	s_and_saveexec_b64 s[0:1], vcc
	s_xor_b64 s[0:1], exec, s[0:1]
; %bb.34:                               ;   in Loop: Header=BB3_6 Depth=1
	v_and_b32_e32 v30, 0x1000000, v9
	v_mov_b32_e32 v31, v10
	v_bfe_u32 v5, v9, 24, 1
	v_cmp_eq_u64_e32 vcc, 0, v[30:31]
	v_lshrrev_b64 v[17:18], v5, v[9:10]
	v_cndmask_b32_e32 v5, v14, v19, vcc
; %bb.35:                               ;   in Loop: Header=BB3_6 Depth=1
	s_andn2_saveexec_b64 s[0:1], s[0:1]
; %bb.36:                               ;   in Loop: Header=BB3_6 Depth=1
	v_mov_b32_e32 v18, v10
	v_bfe_u32 v5, v9, 23, 1
	v_mov_b32_e32 v17, v9
; %bb.37:                               ;   in Loop: Header=BB3_6 Depth=1
	s_or_b64 exec, exec, s[0:1]
	v_lshrrev_b64 v[17:18], 20, v[17:18]
	v_cmp_gt_i32_e32 vcc, 16, v5
	v_cndmask_b32_e32 v18, 0, v18, vcc
	v_cndmask_b32_e32 v17, 7, v17, vcc
	v_and_b32_sdwa v1, v1, s41 dst_sel:DWORD dst_unused:UNUSED_PAD src0_sel:BYTE_3 src1_sel:DWORD
	v_min_i32_e32 v9, 15, v5
	v_cmp_eq_u64_e64 s[0:1], 0, v[17:18]
	v_cmp_eq_u32_e32 vcc, 0, v5
	v_lshl_or_b32 v1, v9, 3, v1
	v_and_or_b32 v1, v17, 7, v1
	s_and_b64 s[0:1], vcc, s[0:1]
	v_cndmask_b32_e64 v18, v1, 0, s[0:1]
.LBB3_38:                               ;   in Loop: Header=BB3_6 Depth=1
	s_or_b64 exec, exec, s[28:29]
                                        ; implicit-def: $vgpr1
.LBB3_39:                               ;   in Loop: Header=BB3_6 Depth=1
	s_andn2_saveexec_b64 s[0:1], s[26:27]
; %bb.40:                               ;   in Loop: Header=BB3_6 Depth=1
	v_or_b32_sdwa v18, v1, s42 dst_sel:DWORD dst_unused:UNUSED_PAD src0_sel:BYTE_3 src1_sel:DWORD
; %bb.41:                               ;   in Loop: Header=BB3_6 Depth=1
	s_or_b64 exec, exec, s[0:1]
.LBB3_42:                               ;   in Loop: Header=BB3_6 Depth=1
	s_or_b64 exec, exec, s[24:25]
	v_cvt_f32_f16_sdwa v1, -v2 dst_sel:DWORD dst_unused:UNUSED_PAD src0_sel:WORD_1
	v_mul_f32_e32 v5, 0x3fb8aa3b, v1
	v_rndne_f32_e32 v9, v5
	v_fma_mix_f32 v14, -v2, s17, -v5 op_sel:[1,0,0] op_sel_hi:[1,0,0]
	v_sub_f32_e32 v5, v5, v9
	v_fma_mix_f32 v14, -v2, s37, v14 op_sel:[1,0,0] op_sel_hi:[1,0,0]
	v_add_f32_e32 v5, v5, v14
	v_cvt_i32_f32_e32 v9, v9
	v_exp_f32_e32 v5, v5
	v_cvt_f32_f16_sdwa v2, v2 dst_sel:DWORD dst_unused:UNUSED_PAD src0_sel:WORD_1
	v_cmp_ngt_f32_e32 vcc, s38, v1
	v_ldexp_f32 v5, v5, v9
	v_cndmask_b32_e32 v5, 0, v5, vcc
	v_cmp_nlt_f32_e32 vcc, s39, v1
	v_cndmask_b32_e32 v1, v27, v5, vcc
	v_add_f32_e32 v1, 1.0, v1
	v_div_scale_f32 v5, s[0:1], v1, v1, v2
	v_div_scale_f32 v9, vcc, v2, v1, v2
	v_rcp_f32_e32 v14, v5
	v_fma_f32 v17, -v5, v14, 1.0
	v_fmac_f32_e32 v14, v17, v14
	v_mul_f32_e32 v17, v9, v14
	v_fma_f32 v19, -v5, v17, v9
	v_fmac_f32_e32 v17, v19, v14
	v_fma_f32 v5, -v5, v17, v9
	v_div_fmas_f32 v5, v5, v14, v17
	v_div_fixup_f32 v1, v5, v1, v2
	v_cvt_f16_f32_e32 v1, v1
	v_mul_f16_sdwa v1, v6, v1 dst_sel:DWORD dst_unused:UNUSED_PAD src0_sel:WORD_1 src1_sel:DWORD
	v_cvt_f32_f16_e32 v1, v1
	v_mul_f32_e32 v1, v20, v1
	v_min_f32_e32 v1, 0x43600000, v1
	v_max_f32_e32 v5, 0xc3600000, v1
	v_and_b32_e32 v9, 0x7f800000, v5
	v_cmp_ne_u64_e32 vcc, s[20:21], v[9:10]
	s_and_saveexec_b64 s[24:25], vcc
	s_cbranch_execz .LBB3_54
; %bb.43:                               ;   in Loop: Header=BB3_6 Depth=1
	v_and_b32_e32 v9, 0x7fffffff, v5
	v_cmp_gt_u64_e32 vcc, s[22:23], v[9:10]
                                        ; implicit-def: $vgpr16_vgpr17
	s_and_saveexec_b64 s[0:1], vcc
	s_xor_b64 s[26:27], exec, s[0:1]
	s_cbranch_execz .LBB3_51
; %bb.44:                               ;   in Loop: Header=BB3_6 Depth=1
	v_mov_b32_e32 v16, 0
	v_cmp_ne_u32_e32 vcc, 0, v5
	v_mov_b32_e32 v17, 0
	s_and_saveexec_b64 s[28:29], vcc
	s_cbranch_execz .LBB3_50
; %bb.45:                               ;   in Loop: Header=BB3_6 Depth=1
	v_bfe_u32 v14, v5, 23, 8
	v_sub_u32_e64 v1, s40, v14 clamp
	v_cmp_eq_u32_e32 vcc, 0, v14
	v_and_b32_e32 v6, 0x7fffff, v5
	v_cndmask_b32_e32 v19, v1, v28, vcc
	v_or_b32_e32 v9, 0x800000, v6
	v_add_u32_e32 v1, 20, v19
	v_lshlrev_b64 v[1:2], v1, -1
	v_cndmask_b32_e32 v9, v9, v6, vcc
	v_add_u32_e32 v6, 19, v19
	v_lshlrev_b64 v[16:17], v6, 1
	v_bfi_b32 v2, v2, 0, 0
	v_bfi_b32 v1, v1, 0, v9
	v_cmp_eq_u64_e64 s[0:1], v[1:2], v[16:17]
	v_lshrrev_b64 v[1:2], v19, v[9:10]
	v_add_u32_e32 v2, 0xffffff89, v14
	v_and_b32_e32 v9, 0x100000, v1
	v_cndmask_b32_e32 v2, v2, v29, vcc
	v_cmp_eq_u64_e32 vcc, 0, v[9:10]
	v_lshrrev_b32_e32 v6, 23, v1
	s_and_b64 vcc, vcc, s[0:1]
	v_add3_u32 v14, v2, v19, v6
	v_subbrev_co_u32_e32 v2, vcc, 0, v1, vcc
	v_add_u32_e32 v16, -1, v14
	v_and_b32_e32 v2, 0xfffff, v2
	v_add_u32_e32 v9, v2, v1
	v_cmp_ne_u32_e32 vcc, 0, v16
                                        ; implicit-def: $vgpr1_vgpr2
                                        ; implicit-def: $vgpr6
	s_and_saveexec_b64 s[0:1], vcc
	s_xor_b64 s[0:1], exec, s[0:1]
; %bb.46:                               ;   in Loop: Header=BB3_6 Depth=1
	v_and_b32_e32 v30, 0x1000000, v9
	v_mov_b32_e32 v31, v10
	v_bfe_u32 v1, v9, 24, 1
	v_cmp_eq_u64_e32 vcc, 0, v[30:31]
	v_lshrrev_b64 v[1:2], v1, v[9:10]
	v_cndmask_b32_e32 v6, v14, v16, vcc
; %bb.47:                               ;   in Loop: Header=BB3_6 Depth=1
	s_andn2_saveexec_b64 s[0:1], s[0:1]
; %bb.48:                               ;   in Loop: Header=BB3_6 Depth=1
	v_mov_b32_e32 v1, v9
	v_bfe_u32 v6, v9, 23, 1
	v_mov_b32_e32 v2, v10
; %bb.49:                               ;   in Loop: Header=BB3_6 Depth=1
	s_or_b64 exec, exec, s[0:1]
	v_lshrrev_b64 v[1:2], 20, v[1:2]
	v_cmp_gt_i32_e32 vcc, 16, v6
	v_cndmask_b32_e32 v2, 0, v2, vcc
	v_cndmask_b32_e32 v1, 7, v1, vcc
	v_and_b32_sdwa v5, v5, s41 dst_sel:DWORD dst_unused:UNUSED_PAD src0_sel:BYTE_3 src1_sel:DWORD
	v_min_i32_e32 v9, 15, v6
	v_cmp_eq_u64_e64 s[0:1], 0, v[1:2]
	v_cmp_eq_u32_e32 vcc, 0, v6
	v_lshl_or_b32 v2, v9, 3, v5
	v_and_or_b32 v1, v1, 7, v2
	s_and_b64 s[0:1], vcc, s[0:1]
	v_cndmask_b32_e64 v16, v1, 0, s[0:1]
.LBB3_50:                               ;   in Loop: Header=BB3_6 Depth=1
	s_or_b64 exec, exec, s[28:29]
                                        ; implicit-def: $vgpr5
.LBB3_51:                               ;   in Loop: Header=BB3_6 Depth=1
	s_andn2_saveexec_b64 s[0:1], s[26:27]
; %bb.52:                               ;   in Loop: Header=BB3_6 Depth=1
	v_or_b32_sdwa v16, v5, s42 dst_sel:DWORD dst_unused:UNUSED_PAD src0_sel:BYTE_3 src1_sel:DWORD
; %bb.53:                               ;   in Loop: Header=BB3_6 Depth=1
	s_or_b64 exec, exec, s[0:1]
.LBB3_54:                               ;   in Loop: Header=BB3_6 Depth=1
	s_or_b64 exec, exec, s[24:25]
	v_cvt_f32_f16_e64 v1, -v3
	v_mul_f32_e32 v2, 0x3fb8aa3b, v1
	v_rndne_f32_e32 v5, v2
	v_fma_mix_f32 v6, -v3, s17, -v2 op_sel_hi:[1,0,0]
	v_sub_f32_e32 v2, v2, v5
	v_fma_mix_f32 v6, -v3, s37, v6 op_sel_hi:[1,0,0]
	v_add_f32_e32 v2, v2, v6
	v_cvt_i32_f32_e32 v5, v5
	v_exp_f32_e32 v2, v2
	v_cvt_f32_f16_e32 v6, v3
	v_cmp_ngt_f32_e32 vcc, s38, v1
	v_ldexp_f32 v2, v2, v5
	v_cndmask_b32_e32 v2, 0, v2, vcc
	v_cmp_nlt_f32_e32 vcc, s39, v1
	v_cndmask_b32_e32 v1, v27, v2, vcc
	v_add_f32_e32 v1, 1.0, v1
	v_div_scale_f32 v2, s[0:1], v1, v1, v6
	v_div_scale_f32 v5, vcc, v6, v1, v6
	v_rcp_f32_e32 v9, v2
	v_fma_f32 v14, -v2, v9, 1.0
	v_fmac_f32_e32 v9, v14, v9
	v_mul_f32_e32 v14, v5, v9
	v_fma_f32 v17, -v2, v14, v5
	v_fmac_f32_e32 v14, v17, v9
	v_fma_f32 v2, -v2, v14, v5
	v_div_fmas_f32 v2, v2, v9, v14
	v_div_fixup_f32 v1, v2, v1, v6
	v_cvt_f16_f32_e32 v1, v1
	v_mul_f16_e32 v1, v7, v1
	v_cvt_f32_f16_e32 v5, v1
	v_mov_b32_e32 v1, 0x80
	v_mov_b32_e32 v2, 0
	v_mul_f32_e32 v2, v20, v5
	v_min_f32_e32 v2, 0x43600000, v2
	v_max_f32_e32 v2, 0xc3600000, v2
	v_and_b32_e32 v9, 0x7f800000, v2
	v_cmp_ne_u64_e32 vcc, s[20:21], v[9:10]
	v_mov_b32_e32 v5, 0x80
	v_mov_b32_e32 v6, 0
	s_and_saveexec_b64 s[24:25], vcc
	s_cbranch_execz .LBB3_66
; %bb.55:                               ;   in Loop: Header=BB3_6 Depth=1
	v_and_b32_e32 v9, 0x7fffffff, v2
	v_cmp_gt_u64_e32 vcc, s[22:23], v[9:10]
                                        ; implicit-def: $vgpr5_vgpr6
	s_and_saveexec_b64 s[0:1], vcc
	s_xor_b64 s[26:27], exec, s[0:1]
	s_cbranch_execz .LBB3_63
; %bb.56:                               ;   in Loop: Header=BB3_6 Depth=1
	v_mov_b32_e32 v5, 0
	v_cmp_ne_u32_e32 vcc, 0, v2
	v_mov_b32_e32 v6, 0
	s_and_saveexec_b64 s[28:29], vcc
	s_cbranch_execz .LBB3_62
; %bb.57:                               ;   in Loop: Header=BB3_6 Depth=1
	v_bfe_u32 v14, v2, 23, 8
	v_sub_u32_e64 v5, s40, v14 clamp
	v_cmp_eq_u32_e32 vcc, 0, v14
	v_and_b32_e32 v9, 0x7fffff, v2
	v_cndmask_b32_e32 v19, v5, v28, vcc
	v_or_b32_e32 v17, 0x800000, v9
	v_add_u32_e32 v5, 20, v19
	v_lshlrev_b64 v[5:6], v5, -1
	v_cndmask_b32_e32 v9, v17, v9, vcc
	v_add_u32_e32 v17, 19, v19
	v_lshlrev_b64 v[30:31], v17, 1
	v_bfi_b32 v6, v6, 0, 0
	v_bfi_b32 v5, v5, 0, v9
	v_cmp_eq_u64_e64 s[0:1], v[5:6], v[30:31]
	v_lshrrev_b64 v[5:6], v19, v[9:10]
	v_add_u32_e32 v6, 0xffffff89, v14
	v_cndmask_b32_e32 v6, v6, v29, vcc
	v_lshrrev_b32_e32 v9, 23, v5
	v_add3_u32 v17, v6, v19, v9
	v_and_b32_e32 v9, 0x100000, v5
	v_cmp_eq_u64_e32 vcc, 0, v[9:10]
	v_add_u32_e32 v19, -1, v17
	s_and_b64 vcc, vcc, s[0:1]
	v_subbrev_co_u32_e32 v6, vcc, 0, v5, vcc
	v_and_b32_e32 v6, 0xfffff, v6
	v_add_u32_e32 v9, v6, v5
	v_cmp_ne_u32_e32 vcc, 0, v19
                                        ; implicit-def: $vgpr5_vgpr6
                                        ; implicit-def: $vgpr14
	s_and_saveexec_b64 s[0:1], vcc
	s_xor_b64 s[0:1], exec, s[0:1]
; %bb.58:                               ;   in Loop: Header=BB3_6 Depth=1
	v_and_b32_e32 v30, 0x1000000, v9
	v_mov_b32_e32 v31, v10
	v_bfe_u32 v5, v9, 24, 1
	v_cmp_eq_u64_e32 vcc, 0, v[30:31]
	v_lshrrev_b64 v[5:6], v5, v[9:10]
	v_cndmask_b32_e32 v14, v17, v19, vcc
; %bb.59:                               ;   in Loop: Header=BB3_6 Depth=1
	s_andn2_saveexec_b64 s[0:1], s[0:1]
; %bb.60:                               ;   in Loop: Header=BB3_6 Depth=1
	v_mov_b32_e32 v5, v9
	v_bfe_u32 v14, v9, 23, 1
	v_mov_b32_e32 v6, v10
; %bb.61:                               ;   in Loop: Header=BB3_6 Depth=1
	s_or_b64 exec, exec, s[0:1]
	v_lshrrev_b64 v[5:6], 20, v[5:6]
	v_cmp_gt_i32_e32 vcc, 16, v14
	v_cndmask_b32_e32 v6, 0, v6, vcc
	v_cndmask_b32_e32 v5, 7, v5, vcc
	v_and_b32_sdwa v2, v2, s41 dst_sel:DWORD dst_unused:UNUSED_PAD src0_sel:BYTE_3 src1_sel:DWORD
	v_min_i32_e32 v9, 15, v14
	v_cmp_eq_u64_e64 s[0:1], 0, v[5:6]
	v_cmp_eq_u32_e32 vcc, 0, v14
	v_lshl_or_b32 v2, v9, 3, v2
	v_and_or_b32 v2, v5, 7, v2
	s_and_b64 s[0:1], vcc, s[0:1]
	v_cndmask_b32_e64 v5, v2, 0, s[0:1]
.LBB3_62:                               ;   in Loop: Header=BB3_6 Depth=1
	s_or_b64 exec, exec, s[28:29]
                                        ; implicit-def: $vgpr2
.LBB3_63:                               ;   in Loop: Header=BB3_6 Depth=1
	s_andn2_saveexec_b64 s[0:1], s[26:27]
; %bb.64:                               ;   in Loop: Header=BB3_6 Depth=1
	v_or_b32_sdwa v5, v2, s42 dst_sel:DWORD dst_unused:UNUSED_PAD src0_sel:BYTE_3 src1_sel:DWORD
; %bb.65:                               ;   in Loop: Header=BB3_6 Depth=1
	s_or_b64 exec, exec, s[0:1]
.LBB3_66:                               ;   in Loop: Header=BB3_6 Depth=1
	s_or_b64 exec, exec, s[24:25]
	v_cvt_f32_f16_sdwa v2, -v3 dst_sel:DWORD dst_unused:UNUSED_PAD src0_sel:WORD_1
	v_mul_f32_e32 v6, 0x3fb8aa3b, v2
	v_rndne_f32_e32 v9, v6
	v_fma_mix_f32 v14, -v3, s17, -v6 op_sel:[1,0,0] op_sel_hi:[1,0,0]
	v_sub_f32_e32 v6, v6, v9
	v_fma_mix_f32 v14, -v3, s37, v14 op_sel:[1,0,0] op_sel_hi:[1,0,0]
	v_add_f32_e32 v6, v6, v14
	v_cvt_i32_f32_e32 v9, v9
	v_exp_f32_e32 v6, v6
	v_cvt_f32_f16_sdwa v3, v3 dst_sel:DWORD dst_unused:UNUSED_PAD src0_sel:WORD_1
	v_cmp_ngt_f32_e32 vcc, s38, v2
	v_ldexp_f32 v6, v6, v9
	v_cndmask_b32_e32 v6, 0, v6, vcc
	v_cmp_nlt_f32_e32 vcc, s39, v2
	v_cndmask_b32_e32 v2, v27, v6, vcc
	v_add_f32_e32 v2, 1.0, v2
	v_div_scale_f32 v6, s[0:1], v2, v2, v3
	v_div_scale_f32 v9, vcc, v3, v2, v3
	v_rcp_f32_e32 v14, v6
	v_fma_f32 v17, -v6, v14, 1.0
	v_fmac_f32_e32 v14, v17, v14
	v_mul_f32_e32 v17, v9, v14
	v_fma_f32 v19, -v6, v17, v9
	v_fmac_f32_e32 v17, v19, v14
	v_fma_f32 v6, -v6, v17, v9
	v_div_fmas_f32 v6, v6, v14, v17
	v_div_fixup_f32 v2, v6, v2, v3
	v_cvt_f16_f32_e32 v2, v2
	v_mul_f16_sdwa v2, v7, v2 dst_sel:DWORD dst_unused:UNUSED_PAD src0_sel:WORD_1 src1_sel:DWORD
	v_cvt_f32_f16_e32 v2, v2
	v_mul_f32_e32 v2, v20, v2
	v_min_f32_e32 v2, 0x43600000, v2
	v_max_f32_e32 v3, 0xc3600000, v2
	v_and_b32_e32 v9, 0x7f800000, v3
	v_cmp_ne_u64_e32 vcc, s[20:21], v[9:10]
	s_and_saveexec_b64 s[24:25], vcc
	s_cbranch_execz .LBB3_78
; %bb.67:                               ;   in Loop: Header=BB3_6 Depth=1
	v_and_b32_e32 v9, 0x7fffffff, v3
	v_cmp_gt_u64_e32 vcc, s[22:23], v[9:10]
                                        ; implicit-def: $vgpr1_vgpr2
	s_and_saveexec_b64 s[0:1], vcc
	s_xor_b64 s[26:27], exec, s[0:1]
	s_cbranch_execz .LBB3_75
; %bb.68:                               ;   in Loop: Header=BB3_6 Depth=1
	v_mov_b32_e32 v1, 0
	v_cmp_ne_u32_e32 vcc, 0, v3
	v_mov_b32_e32 v2, 0
	s_and_saveexec_b64 s[28:29], vcc
	s_cbranch_execz .LBB3_74
; %bb.69:                               ;   in Loop: Header=BB3_6 Depth=1
	v_bfe_u32 v14, v3, 23, 8
	v_sub_u32_e64 v1, s40, v14 clamp
	v_cmp_eq_u32_e32 vcc, 0, v14
	v_and_b32_e32 v6, 0x7fffff, v3
	v_cndmask_b32_e32 v17, v1, v28, vcc
	v_or_b32_e32 v7, 0x800000, v6
	v_add_u32_e32 v1, 20, v17
	v_lshlrev_b64 v[1:2], v1, -1
	v_cndmask_b32_e32 v9, v7, v6, vcc
	v_add_u32_e32 v6, 19, v17
	v_lshlrev_b64 v[6:7], v6, 1
	v_bfi_b32 v2, v2, 0, 0
	v_bfi_b32 v1, v1, 0, v9
	v_cmp_eq_u64_e64 s[0:1], v[1:2], v[6:7]
	v_lshrrev_b64 v[1:2], v17, v[9:10]
	v_add_u32_e32 v2, 0xffffff89, v14
	v_and_b32_e32 v9, 0x100000, v1
	v_cndmask_b32_e32 v2, v2, v29, vcc
	v_cmp_eq_u64_e32 vcc, 0, v[9:10]
	v_lshrrev_b32_e32 v6, 23, v1
	s_and_b64 vcc, vcc, s[0:1]
	v_add3_u32 v7, v2, v17, v6
	v_subbrev_co_u32_e32 v2, vcc, 0, v1, vcc
	v_add_u32_e32 v14, -1, v7
	v_and_b32_e32 v2, 0xfffff, v2
	v_add_u32_e32 v9, v2, v1
	v_cmp_ne_u32_e32 vcc, 0, v14
                                        ; implicit-def: $vgpr1_vgpr2
                                        ; implicit-def: $vgpr6
	s_and_saveexec_b64 s[0:1], vcc
	s_xor_b64 s[0:1], exec, s[0:1]
; %bb.70:                               ;   in Loop: Header=BB3_6 Depth=1
	v_and_b32_e32 v30, 0x1000000, v9
	v_mov_b32_e32 v31, v10
	v_bfe_u32 v1, v9, 24, 1
	v_cmp_eq_u64_e32 vcc, 0, v[30:31]
	v_lshrrev_b64 v[1:2], v1, v[9:10]
	v_cndmask_b32_e32 v6, v7, v14, vcc
; %bb.71:                               ;   in Loop: Header=BB3_6 Depth=1
	s_andn2_saveexec_b64 s[0:1], s[0:1]
; %bb.72:                               ;   in Loop: Header=BB3_6 Depth=1
	v_mov_b32_e32 v1, v9
	v_bfe_u32 v6, v9, 23, 1
	v_mov_b32_e32 v2, v10
; %bb.73:                               ;   in Loop: Header=BB3_6 Depth=1
	s_or_b64 exec, exec, s[0:1]
	v_lshrrev_b64 v[1:2], 20, v[1:2]
	v_cmp_gt_i32_e32 vcc, 16, v6
	v_cndmask_b32_e32 v2, 0, v2, vcc
	v_cndmask_b32_e32 v1, 7, v1, vcc
	v_and_b32_sdwa v3, v3, s41 dst_sel:DWORD dst_unused:UNUSED_PAD src0_sel:BYTE_3 src1_sel:DWORD
	v_min_i32_e32 v7, 15, v6
	v_cmp_eq_u64_e64 s[0:1], 0, v[1:2]
	v_cmp_eq_u32_e32 vcc, 0, v6
	v_lshl_or_b32 v2, v7, 3, v3
	v_and_or_b32 v1, v1, 7, v2
	s_and_b64 s[0:1], vcc, s[0:1]
	v_cndmask_b32_e64 v1, v1, 0, s[0:1]
.LBB3_74:                               ;   in Loop: Header=BB3_6 Depth=1
	s_or_b64 exec, exec, s[28:29]
                                        ; implicit-def: $vgpr3
.LBB3_75:                               ;   in Loop: Header=BB3_6 Depth=1
	s_andn2_saveexec_b64 s[0:1], s[26:27]
; %bb.76:                               ;   in Loop: Header=BB3_6 Depth=1
	v_or_b32_sdwa v1, v3, s42 dst_sel:DWORD dst_unused:UNUSED_PAD src0_sel:BYTE_3 src1_sel:DWORD
; %bb.77:                               ;   in Loop: Header=BB3_6 Depth=1
	s_or_b64 exec, exec, s[0:1]
.LBB3_78:                               ;   in Loop: Header=BB3_6 Depth=1
	s_or_b64 exec, exec, s[24:25]
	v_cvt_f32_f16_e64 v2, -v4
	v_mul_f32_e32 v3, 0x3fb8aa3b, v2
	v_rndne_f32_e32 v6, v3
	v_fma_mix_f32 v7, -v4, s17, -v3 op_sel_hi:[1,0,0]
	v_sub_f32_e32 v3, v3, v6
	v_fma_mix_f32 v7, -v4, s37, v7 op_sel_hi:[1,0,0]
	v_add_f32_e32 v3, v3, v7
	v_cvt_i32_f32_e32 v6, v6
	v_exp_f32_e32 v3, v3
	v_cvt_f32_f16_e32 v7, v4
	v_cmp_ngt_f32_e32 vcc, s38, v2
	v_ldexp_f32 v3, v3, v6
	v_cndmask_b32_e32 v3, 0, v3, vcc
	v_cmp_nlt_f32_e32 vcc, s39, v2
	v_cndmask_b32_e32 v2, v27, v3, vcc
	v_add_f32_e32 v2, 1.0, v2
	v_div_scale_f32 v3, s[0:1], v2, v2, v7
	v_div_scale_f32 v6, vcc, v7, v2, v7
	v_rcp_f32_e32 v9, v3
	v_fma_f32 v14, -v3, v9, 1.0
	v_fmac_f32_e32 v9, v14, v9
	v_mul_f32_e32 v14, v6, v9
	v_fma_f32 v17, -v3, v14, v6
	v_fmac_f32_e32 v14, v17, v9
	v_fma_f32 v3, -v3, v14, v6
	v_div_fmas_f32 v3, v3, v9, v14
	v_div_fixup_f32 v2, v3, v2, v7
	v_cvt_f16_f32_e32 v2, v2
	v_mul_f16_e32 v2, v8, v2
	v_cvt_f32_f16_e32 v6, v2
	v_mov_b32_e32 v2, 0x80
	v_mov_b32_e32 v3, 0
	v_mul_f32_e32 v3, v20, v6
	v_min_f32_e32 v3, 0x43600000, v3
	v_max_f32_e32 v3, 0xc3600000, v3
	v_and_b32_e32 v9, 0x7f800000, v3
	v_cmp_ne_u64_e32 vcc, s[20:21], v[9:10]
	v_mov_b32_e32 v6, 0x80
	v_mov_b32_e32 v7, 0
	s_and_saveexec_b64 s[24:25], vcc
	s_cbranch_execz .LBB3_90
; %bb.79:                               ;   in Loop: Header=BB3_6 Depth=1
	v_and_b32_e32 v9, 0x7fffffff, v3
	v_cmp_gt_u64_e32 vcc, s[22:23], v[9:10]
                                        ; implicit-def: $vgpr6_vgpr7
	s_and_saveexec_b64 s[0:1], vcc
	s_xor_b64 s[26:27], exec, s[0:1]
	s_cbranch_execz .LBB3_87
; %bb.80:                               ;   in Loop: Header=BB3_6 Depth=1
	v_mov_b32_e32 v6, 0
	v_cmp_ne_u32_e32 vcc, 0, v3
	v_mov_b32_e32 v7, 0
	s_and_saveexec_b64 s[28:29], vcc
	s_cbranch_execz .LBB3_86
; %bb.81:                               ;   in Loop: Header=BB3_6 Depth=1
	v_bfe_u32 v14, v3, 23, 8
	v_sub_u32_e64 v6, s40, v14 clamp
	v_cmp_eq_u32_e32 vcc, 0, v14
	v_and_b32_e32 v9, 0x7fffff, v3
	v_cndmask_b32_e32 v19, v6, v28, vcc
	v_or_b32_e32 v17, 0x800000, v9
	v_add_u32_e32 v6, 20, v19
	v_lshlrev_b64 v[6:7], v6, -1
	v_cndmask_b32_e32 v9, v17, v9, vcc
	v_add_u32_e32 v17, 19, v19
	v_lshlrev_b64 v[30:31], v17, 1
	v_bfi_b32 v7, v7, 0, 0
	v_bfi_b32 v6, v6, 0, v9
	v_cmp_eq_u64_e64 s[0:1], v[6:7], v[30:31]
	v_lshrrev_b64 v[6:7], v19, v[9:10]
	v_add_u32_e32 v7, 0xffffff89, v14
	v_cndmask_b32_e32 v7, v7, v29, vcc
	v_lshrrev_b32_e32 v9, 23, v6
	v_add3_u32 v17, v7, v19, v9
	v_and_b32_e32 v9, 0x100000, v6
	v_cmp_eq_u64_e32 vcc, 0, v[9:10]
	v_add_u32_e32 v19, -1, v17
	s_and_b64 vcc, vcc, s[0:1]
	v_subbrev_co_u32_e32 v7, vcc, 0, v6, vcc
	v_and_b32_e32 v7, 0xfffff, v7
	v_add_u32_e32 v9, v7, v6
	v_cmp_ne_u32_e32 vcc, 0, v19
                                        ; implicit-def: $vgpr6_vgpr7
                                        ; implicit-def: $vgpr14
	s_and_saveexec_b64 s[0:1], vcc
	s_xor_b64 s[0:1], exec, s[0:1]
; %bb.82:                               ;   in Loop: Header=BB3_6 Depth=1
	v_and_b32_e32 v30, 0x1000000, v9
	v_mov_b32_e32 v31, v10
	v_bfe_u32 v6, v9, 24, 1
	v_cmp_eq_u64_e32 vcc, 0, v[30:31]
	v_lshrrev_b64 v[6:7], v6, v[9:10]
	v_cndmask_b32_e32 v14, v17, v19, vcc
; %bb.83:                               ;   in Loop: Header=BB3_6 Depth=1
	s_andn2_saveexec_b64 s[0:1], s[0:1]
; %bb.84:                               ;   in Loop: Header=BB3_6 Depth=1
	v_mov_b32_e32 v6, v9
	v_bfe_u32 v14, v9, 23, 1
	v_mov_b32_e32 v7, v10
; %bb.85:                               ;   in Loop: Header=BB3_6 Depth=1
	s_or_b64 exec, exec, s[0:1]
	v_lshrrev_b64 v[6:7], 20, v[6:7]
	v_cmp_gt_i32_e32 vcc, 16, v14
	v_cndmask_b32_e32 v7, 0, v7, vcc
	v_cndmask_b32_e32 v6, 7, v6, vcc
	v_and_b32_sdwa v3, v3, s41 dst_sel:DWORD dst_unused:UNUSED_PAD src0_sel:BYTE_3 src1_sel:DWORD
	v_min_i32_e32 v9, 15, v14
	v_cmp_eq_u64_e64 s[0:1], 0, v[6:7]
	v_cmp_eq_u32_e32 vcc, 0, v14
	v_lshl_or_b32 v3, v9, 3, v3
	v_and_or_b32 v3, v6, 7, v3
	s_and_b64 s[0:1], vcc, s[0:1]
	v_cndmask_b32_e64 v6, v3, 0, s[0:1]
.LBB3_86:                               ;   in Loop: Header=BB3_6 Depth=1
	s_or_b64 exec, exec, s[28:29]
                                        ; implicit-def: $vgpr3
.LBB3_87:                               ;   in Loop: Header=BB3_6 Depth=1
	s_andn2_saveexec_b64 s[0:1], s[26:27]
; %bb.88:                               ;   in Loop: Header=BB3_6 Depth=1
	v_or_b32_sdwa v6, v3, s42 dst_sel:DWORD dst_unused:UNUSED_PAD src0_sel:BYTE_3 src1_sel:DWORD
; %bb.89:                               ;   in Loop: Header=BB3_6 Depth=1
	s_or_b64 exec, exec, s[0:1]
.LBB3_90:                               ;   in Loop: Header=BB3_6 Depth=1
	s_or_b64 exec, exec, s[24:25]
	v_cvt_f32_f16_sdwa v3, -v4 dst_sel:DWORD dst_unused:UNUSED_PAD src0_sel:WORD_1
	v_mul_f32_e32 v7, 0x3fb8aa3b, v3
	v_rndne_f32_e32 v9, v7
	v_fma_mix_f32 v14, -v4, s17, -v7 op_sel:[1,0,0] op_sel_hi:[1,0,0]
	v_sub_f32_e32 v7, v7, v9
	v_fma_mix_f32 v14, -v4, s37, v14 op_sel:[1,0,0] op_sel_hi:[1,0,0]
	v_add_f32_e32 v7, v7, v14
	v_cvt_i32_f32_e32 v9, v9
	v_exp_f32_e32 v7, v7
	v_cvt_f32_f16_sdwa v4, v4 dst_sel:DWORD dst_unused:UNUSED_PAD src0_sel:WORD_1
	v_cmp_ngt_f32_e32 vcc, s38, v3
	v_ldexp_f32 v7, v7, v9
	v_cndmask_b32_e32 v7, 0, v7, vcc
	v_cmp_nlt_f32_e32 vcc, s39, v3
	v_cndmask_b32_e32 v3, v27, v7, vcc
	v_add_f32_e32 v3, 1.0, v3
	v_div_scale_f32 v7, s[0:1], v3, v3, v4
	v_div_scale_f32 v9, vcc, v4, v3, v4
	v_rcp_f32_e32 v14, v7
	v_fma_f32 v17, -v7, v14, 1.0
	v_fmac_f32_e32 v14, v17, v14
	v_mul_f32_e32 v17, v9, v14
	v_fma_f32 v19, -v7, v17, v9
	v_fmac_f32_e32 v17, v19, v14
	v_fma_f32 v7, -v7, v17, v9
	v_div_fmas_f32 v7, v7, v14, v17
	v_div_fixup_f32 v3, v7, v3, v4
	v_cvt_f16_f32_e32 v3, v3
	v_mul_f16_sdwa v3, v8, v3 dst_sel:DWORD dst_unused:UNUSED_PAD src0_sel:WORD_1 src1_sel:DWORD
	v_cvt_f32_f16_e32 v3, v3
	v_mul_f32_e32 v3, v20, v3
	v_min_f32_e32 v3, 0x43600000, v3
	v_max_f32_e32 v4, 0xc3600000, v3
	v_and_b32_e32 v9, 0x7f800000, v4
	v_cmp_ne_u64_e32 vcc, s[20:21], v[9:10]
	s_and_saveexec_b64 s[24:25], vcc
	s_cbranch_execz .LBB3_5
; %bb.91:                               ;   in Loop: Header=BB3_6 Depth=1
	v_and_b32_e32 v9, 0x7fffffff, v4
	v_cmp_gt_u64_e32 vcc, s[22:23], v[9:10]
                                        ; implicit-def: $vgpr2_vgpr3
	s_and_saveexec_b64 s[0:1], vcc
	s_xor_b64 s[26:27], exec, s[0:1]
	s_cbranch_execz .LBB3_99
; %bb.92:                               ;   in Loop: Header=BB3_6 Depth=1
	v_mov_b32_e32 v2, 0
	v_cmp_ne_u32_e32 vcc, 0, v4
	v_mov_b32_e32 v3, 0
	s_and_saveexec_b64 s[28:29], vcc
	s_cbranch_execz .LBB3_98
; %bb.93:                               ;   in Loop: Header=BB3_6 Depth=1
	v_bfe_u32 v14, v4, 23, 8
	v_sub_u32_e64 v2, s40, v14 clamp
	v_cmp_eq_u32_e32 vcc, 0, v14
	v_and_b32_e32 v7, 0x7fffff, v4
	v_cndmask_b32_e32 v17, v2, v28, vcc
	v_or_b32_e32 v8, 0x800000, v7
	v_add_u32_e32 v2, 20, v17
	v_lshlrev_b64 v[2:3], v2, -1
	v_cndmask_b32_e32 v9, v8, v7, vcc
	v_add_u32_e32 v7, 19, v17
	v_lshlrev_b64 v[7:8], v7, 1
	v_bfi_b32 v3, v3, 0, 0
	v_bfi_b32 v2, v2, 0, v9
	v_cmp_eq_u64_e64 s[0:1], v[2:3], v[7:8]
	v_lshrrev_b64 v[2:3], v17, v[9:10]
	v_add_u32_e32 v3, 0xffffff89, v14
	v_and_b32_e32 v9, 0x100000, v2
	v_cndmask_b32_e32 v3, v3, v29, vcc
	v_cmp_eq_u64_e32 vcc, 0, v[9:10]
	v_lshrrev_b32_e32 v7, 23, v2
	s_and_b64 vcc, vcc, s[0:1]
	v_add3_u32 v8, v3, v17, v7
	v_subbrev_co_u32_e32 v3, vcc, 0, v2, vcc
	v_add_u32_e32 v14, -1, v8
	v_and_b32_e32 v3, 0xfffff, v3
	v_add_u32_e32 v9, v3, v2
	v_cmp_ne_u32_e32 vcc, 0, v14
                                        ; implicit-def: $vgpr2_vgpr3
                                        ; implicit-def: $vgpr7
	s_and_saveexec_b64 s[0:1], vcc
	s_xor_b64 s[0:1], exec, s[0:1]
; %bb.94:                               ;   in Loop: Header=BB3_6 Depth=1
	v_and_b32_e32 v30, 0x1000000, v9
	v_mov_b32_e32 v31, v10
	v_bfe_u32 v2, v9, 24, 1
	v_cmp_eq_u64_e32 vcc, 0, v[30:31]
	v_lshrrev_b64 v[2:3], v2, v[9:10]
	v_cndmask_b32_e32 v7, v8, v14, vcc
; %bb.95:                               ;   in Loop: Header=BB3_6 Depth=1
	s_andn2_saveexec_b64 s[0:1], s[0:1]
; %bb.96:                               ;   in Loop: Header=BB3_6 Depth=1
	v_mov_b32_e32 v2, v9
	v_bfe_u32 v7, v9, 23, 1
	v_mov_b32_e32 v3, v10
; %bb.97:                               ;   in Loop: Header=BB3_6 Depth=1
	s_or_b64 exec, exec, s[0:1]
	v_lshrrev_b64 v[2:3], 20, v[2:3]
	v_cmp_gt_i32_e32 vcc, 16, v7
	v_cndmask_b32_e32 v3, 0, v3, vcc
	v_cndmask_b32_e32 v2, 7, v2, vcc
	v_and_b32_sdwa v4, v4, s41 dst_sel:DWORD dst_unused:UNUSED_PAD src0_sel:BYTE_3 src1_sel:DWORD
	v_min_i32_e32 v8, 15, v7
	v_cmp_eq_u64_e64 s[0:1], 0, v[2:3]
	v_cmp_eq_u32_e32 vcc, 0, v7
	v_lshl_or_b32 v3, v8, 3, v4
	v_and_or_b32 v2, v2, 7, v3
	s_and_b64 s[0:1], vcc, s[0:1]
	v_cndmask_b32_e64 v2, v2, 0, s[0:1]
.LBB3_98:                               ;   in Loop: Header=BB3_6 Depth=1
	s_or_b64 exec, exec, s[28:29]
                                        ; implicit-def: $vgpr4
.LBB3_99:                               ;   in Loop: Header=BB3_6 Depth=1
	s_andn2_saveexec_b64 s[0:1], s[26:27]
	s_cbranch_execz .LBB3_4
; %bb.100:                              ;   in Loop: Header=BB3_6 Depth=1
	v_or_b32_sdwa v2, v4, s42 dst_sel:DWORD dst_unused:UNUSED_PAD src0_sel:BYTE_3 src1_sel:DWORD
	s_branch .LBB3_4
.LBB3_101:
	s_or_b64 exec, exec, s[14:15]
	s_sub_i32 s0, 8, s3
	s_cmp_gt_i32 s2, s0
	s_cbranch_scc0 .LBB3_117
; %bb.102:
	v_add_u32_e32 v0, s0, v0
	v_cmp_gt_i32_e32 vcc, s2, v0
	s_and_saveexec_b64 s[0:1], vcc
	s_cbranch_execz .LBB3_117
; %bb.103:
	s_load_dword s0, s[12:13], 0xc
	s_add_u32 s18, s8, s4
	s_addc_u32 s19, s9, s5
	v_lshlrev_b32_e32 v2, 1, v0
	v_mov_b32_e32 v1, 0
	s_waitcnt lgkmcnt(0)
	s_and_b32 s20, s0, 0xffff
	s_lshl_b64 s[0:1], s[6:7], 2
	s_or_b32 s0, s0, 2
	s_mul_i32 s6, s0, s31
	s_mul_hi_u32 s7, s0, s30
	s_add_i32 s6, s7, s6
	s_mul_i32 s1, s1, s30
	v_mov_b32_e32 v3, s11
	v_add_co_u32_e32 v6, vcc, s10, v2
	s_add_i32 s1, s6, s1
	v_addc_co_u32_e32 v7, vcc, 0, v3, vcc
	s_lshl_b64 s[4:5], s[4:5], 2
	v_mov_b32_e32 v3, v1
	s_mov_b32 s3, 0
	s_mul_i32 s21, s0, s30
	s_lshl_b32 s22, s20, 1
	s_mov_b64 s[6:7], 0
	v_mov_b32_e32 v8, s5
	v_mov_b32_e32 v9, s1
	s_mov_b32 s5, 0x3fb8aa3b
	s_mov_b32 s23, 0x32a5705f
	;; [unrolled: 1-line block ×4, first 2 shown]
	v_mov_b32_e32 v10, 0x7f800000
	s_mov_b64 s[8:9], 0x7f800000
	s_mov_b64 s[10:11], 0x43700001
	s_movk_i32 s26, 0x78
	s_movk_i32 s27, 0x80
	;; [unrolled: 1-line block ×3, first 2 shown]
	v_mov_b32_e32 v11, 0x77
	v_mov_b32_e32 v12, 0xffffff8a
	;; [unrolled: 1-line block ×3, first 2 shown]
	s_branch .LBB3_106
.LBB3_104:                              ;   in Loop: Header=BB3_106 Depth=1
	s_or_b64 exec, exec, s[0:1]
.LBB3_105:                              ;   in Loop: Header=BB3_106 Depth=1
	s_or_b64 exec, exec, s[12:13]
	v_mov_b32_e32 v5, s19
	v_add_co_u32_e32 v4, vcc, s18, v2
	v_addc_co_u32_e32 v5, vcc, v5, v3, vcc
	v_add_co_u32_e32 v2, vcc, s20, v2
	v_addc_co_u32_e32 v3, vcc, 0, v3, vcc
	v_cmp_le_u64_e32 vcc, s[2:3], v[2:3]
	global_store_byte v[4:5], v0, off
	s_or_b64 s[6:7], vcc, s[6:7]
	v_add_co_u32_e32 v6, vcc, s22, v6
	v_addc_co_u32_e32 v7, vcc, 0, v7, vcc
	s_andn2_b64 exec, exec, s[6:7]
	s_cbranch_execz .LBB3_117
.LBB3_106:                              ; =>This Inner Loop Header: Depth=1
	v_add_co_u32_e32 v4, vcc, s4, v6
	v_addc_co_u32_e32 v5, vcc, v7, v8, vcc
	global_load_ushort v0, v[4:5], off
	v_add_co_u32_e32 v4, vcc, s21, v6
	v_addc_co_u32_e32 v5, vcc, v7, v9, vcc
	global_load_ushort v4, v[4:5], off
	s_waitcnt vmcnt(1)
	v_cvt_f32_f16_e64 v5, -v0
	v_mul_f32_e32 v13, 0x3fb8aa3b, v5
	v_fma_mix_f32 v14, -v0, s5, -v13 op_sel_hi:[1,0,0]
	v_rndne_f32_e32 v15, v13
	v_fma_mix_f32 v14, -v0, s23, v14 op_sel_hi:[1,0,0]
	v_sub_f32_e32 v13, v13, v15
	v_add_f32_e32 v13, v13, v14
	v_cvt_i32_f32_e32 v15, v15
	v_exp_f32_e32 v13, v13
	v_cvt_f32_f16_e32 v0, v0
	v_cmp_ngt_f32_e32 vcc, s24, v5
	v_ldexp_f32 v13, v13, v15
	v_cndmask_b32_e32 v13, 0, v13, vcc
	v_cmp_nlt_f32_e32 vcc, s25, v5
	v_cndmask_b32_e32 v5, v10, v13, vcc
	v_add_f32_e32 v5, 1.0, v5
	v_div_scale_f32 v13, s[0:1], v5, v5, v0
	v_div_scale_f32 v14, vcc, v0, v5, v0
	v_rcp_f32_e32 v15, v13
	v_fma_f32 v16, -v13, v15, 1.0
	v_fmac_f32_e32 v15, v16, v15
	v_mul_f32_e32 v16, v14, v15
	v_fma_f32 v17, -v13, v16, v14
	v_fmac_f32_e32 v16, v17, v15
	v_fma_f32 v13, -v13, v16, v14
	v_div_fmas_f32 v13, v13, v15, v16
	v_div_fixup_f32 v0, v13, v5, v0
	v_cvt_f16_f32_e32 v0, v0
	s_waitcnt vmcnt(0)
	v_mul_f16_e32 v0, v4, v0
	v_cvt_f32_f16_e32 v0, v0
	v_mul_f32_e32 v0, v20, v0
	v_min_f32_e32 v0, 0x43600000, v0
	v_max_f32_e32 v13, 0xc3600000, v0
	v_and_b32_e32 v0, 0x7f800000, v13
	v_cmp_ne_u64_e32 vcc, s[8:9], v[0:1]
	v_mov_b32_e32 v0, 0x80
	s_and_saveexec_b64 s[12:13], vcc
	s_cbranch_execz .LBB3_105
; %bb.107:                              ;   in Loop: Header=BB3_106 Depth=1
	v_and_b32_e32 v0, 0x7fffffff, v13
	v_cmp_gt_u64_e32 vcc, s[10:11], v[0:1]
                                        ; implicit-def: $vgpr0
	s_and_saveexec_b64 s[0:1], vcc
	s_xor_b64 s[14:15], exec, s[0:1]
	s_cbranch_execz .LBB3_115
; %bb.108:                              ;   in Loop: Header=BB3_106 Depth=1
	v_cmp_ne_u32_e32 vcc, 0, v13
	v_mov_b32_e32 v0, 0
	s_and_saveexec_b64 s[16:17], vcc
	s_cbranch_execz .LBB3_114
; %bb.109:                              ;   in Loop: Header=BB3_106 Depth=1
	v_bfe_u32 v16, v13, 23, 8
	v_sub_u32_e64 v4, s26, v16 clamp
	v_cmp_eq_u32_e32 vcc, 0, v16
	v_and_b32_e32 v0, 0x7fffff, v13
	v_cndmask_b32_e32 v17, v4, v11, vcc
	v_or_b32_e32 v14, 0x800000, v0
	v_add_u32_e32 v4, 20, v17
	v_lshlrev_b64 v[4:5], v4, -1
	v_cndmask_b32_e32 v0, v14, v0, vcc
	v_add_u32_e32 v14, 19, v17
	v_lshlrev_b64 v[14:15], v14, 1
	v_bfi_b32 v5, v5, 0, 0
	v_bfi_b32 v4, v4, 0, v0
	v_cmp_eq_u64_e64 s[0:1], v[4:5], v[14:15]
	v_lshrrev_b64 v[4:5], v17, v[0:1]
	v_add_u32_e32 v0, 0xffffff89, v16
	v_cndmask_b32_e32 v0, v0, v12, vcc
	v_lshrrev_b32_e32 v5, 23, v4
	v_add3_u32 v15, v0, v17, v5
	v_and_b32_e32 v0, 0x100000, v4
	v_cmp_eq_u64_e32 vcc, 0, v[0:1]
	v_add_u32_e32 v16, -1, v15
	s_and_b64 vcc, vcc, s[0:1]
	v_subbrev_co_u32_e32 v0, vcc, 0, v4, vcc
	v_and_b32_e32 v0, 0xfffff, v0
	v_add_u32_e32 v0, v0, v4
	v_cmp_ne_u32_e32 vcc, 0, v16
                                        ; implicit-def: $vgpr4_vgpr5
                                        ; implicit-def: $vgpr14
	s_and_saveexec_b64 s[0:1], vcc
	s_xor_b64 s[0:1], exec, s[0:1]
; %bb.110:                              ;   in Loop: Header=BB3_106 Depth=1
	v_and_b32_e32 v17, 0x1000000, v0
	v_mov_b32_e32 v18, v1
	v_cmp_eq_u64_e32 vcc, 0, v[17:18]
	v_bfe_u32 v4, v0, 24, 1
	v_lshrrev_b64 v[4:5], v4, v[0:1]
	v_cndmask_b32_e32 v14, v15, v16, vcc
; %bb.111:                              ;   in Loop: Header=BB3_106 Depth=1
	s_andn2_saveexec_b64 s[0:1], s[0:1]
; %bb.112:                              ;   in Loop: Header=BB3_106 Depth=1
	v_mov_b32_e32 v5, v1
	v_bfe_u32 v14, v0, 23, 1
	v_mov_b32_e32 v4, v0
; %bb.113:                              ;   in Loop: Header=BB3_106 Depth=1
	s_or_b64 exec, exec, s[0:1]
	v_lshrrev_b64 v[4:5], 20, v[4:5]
	v_cmp_gt_i32_e32 vcc, 16, v14
	v_cndmask_b32_e32 v5, 0, v5, vcc
	v_cndmask_b32_e32 v4, 7, v4, vcc
	v_and_b32_sdwa v0, v13, s27 dst_sel:DWORD dst_unused:UNUSED_PAD src0_sel:BYTE_3 src1_sel:DWORD
	v_min_i32_e32 v13, 15, v14
	v_cmp_eq_u64_e64 s[0:1], 0, v[4:5]
	v_cmp_eq_u32_e32 vcc, 0, v14
	v_lshl_or_b32 v0, v13, 3, v0
	v_and_or_b32 v0, v4, 7, v0
	s_and_b64 s[0:1], vcc, s[0:1]
	v_cndmask_b32_e64 v0, v0, 0, s[0:1]
.LBB3_114:                              ;   in Loop: Header=BB3_106 Depth=1
	s_or_b64 exec, exec, s[16:17]
                                        ; implicit-def: $vgpr13
.LBB3_115:                              ;   in Loop: Header=BB3_106 Depth=1
	s_andn2_saveexec_b64 s[0:1], s[14:15]
	s_cbranch_execz .LBB3_104
; %bb.116:                              ;   in Loop: Header=BB3_106 Depth=1
	v_or_b32_sdwa v0, v13, s28 dst_sel:DWORD dst_unused:UNUSED_PAD src0_sel:BYTE_3 src1_sel:DWORD
	s_branch .LBB3_104
.LBB3_117:
	s_endpgm
	.section	.rodata,"a",@progbits
	.p2align	6, 0x0
	.amdhsa_kernel _ZN4vllm24act_and_mul_quant_kernelIN3c104HalfETnPFT_RKS3_EXadL_ZNS_11silu_kernelIS2_EES3_S5_EENS1_15Float8_e4m3fnuzEEEvPT1_PS4_PKfi
		.amdhsa_group_segment_fixed_size 0
		.amdhsa_private_segment_fixed_size 0
		.amdhsa_kernarg_size 288
		.amdhsa_user_sgpr_count 6
		.amdhsa_user_sgpr_private_segment_buffer 1
		.amdhsa_user_sgpr_dispatch_ptr 0
		.amdhsa_user_sgpr_queue_ptr 0
		.amdhsa_user_sgpr_kernarg_segment_ptr 1
		.amdhsa_user_sgpr_dispatch_id 0
		.amdhsa_user_sgpr_flat_scratch_init 0
		.amdhsa_user_sgpr_private_segment_size 0
		.amdhsa_uses_dynamic_stack 0
		.amdhsa_system_sgpr_private_segment_wavefront_offset 0
		.amdhsa_system_sgpr_workgroup_id_x 1
		.amdhsa_system_sgpr_workgroup_id_y 1
		.amdhsa_system_sgpr_workgroup_id_z 0
		.amdhsa_system_sgpr_workgroup_info 0
		.amdhsa_system_vgpr_workitem_id 0
		.amdhsa_next_free_vgpr 33
		.amdhsa_next_free_sgpr 45
		.amdhsa_reserve_vcc 1
		.amdhsa_reserve_flat_scratch 0
		.amdhsa_float_round_mode_32 0
		.amdhsa_float_round_mode_16_64 0
		.amdhsa_float_denorm_mode_32 3
		.amdhsa_float_denorm_mode_16_64 3
		.amdhsa_dx10_clamp 1
		.amdhsa_ieee_mode 1
		.amdhsa_fp16_overflow 0
		.amdhsa_exception_fp_ieee_invalid_op 0
		.amdhsa_exception_fp_denorm_src 0
		.amdhsa_exception_fp_ieee_div_zero 0
		.amdhsa_exception_fp_ieee_overflow 0
		.amdhsa_exception_fp_ieee_underflow 0
		.amdhsa_exception_fp_ieee_inexact 0
		.amdhsa_exception_int_div_zero 0
	.end_amdhsa_kernel
	.section	.text._ZN4vllm24act_and_mul_quant_kernelIN3c104HalfETnPFT_RKS3_EXadL_ZNS_11silu_kernelIS2_EES3_S5_EENS1_15Float8_e4m3fnuzEEEvPT1_PS4_PKfi,"axG",@progbits,_ZN4vllm24act_and_mul_quant_kernelIN3c104HalfETnPFT_RKS3_EXadL_ZNS_11silu_kernelIS2_EES3_S5_EENS1_15Float8_e4m3fnuzEEEvPT1_PS4_PKfi,comdat
.Lfunc_end3:
	.size	_ZN4vllm24act_and_mul_quant_kernelIN3c104HalfETnPFT_RKS3_EXadL_ZNS_11silu_kernelIS2_EES3_S5_EENS1_15Float8_e4m3fnuzEEEvPT1_PS4_PKfi, .Lfunc_end3-_ZN4vllm24act_and_mul_quant_kernelIN3c104HalfETnPFT_RKS3_EXadL_ZNS_11silu_kernelIS2_EES3_S5_EENS1_15Float8_e4m3fnuzEEEvPT1_PS4_PKfi
                                        ; -- End function
	.set _ZN4vllm24act_and_mul_quant_kernelIN3c104HalfETnPFT_RKS3_EXadL_ZNS_11silu_kernelIS2_EES3_S5_EENS1_15Float8_e4m3fnuzEEEvPT1_PS4_PKfi.num_vgpr, 33
	.set _ZN4vllm24act_and_mul_quant_kernelIN3c104HalfETnPFT_RKS3_EXadL_ZNS_11silu_kernelIS2_EES3_S5_EENS1_15Float8_e4m3fnuzEEEvPT1_PS4_PKfi.num_agpr, 0
	.set _ZN4vllm24act_and_mul_quant_kernelIN3c104HalfETnPFT_RKS3_EXadL_ZNS_11silu_kernelIS2_EES3_S5_EENS1_15Float8_e4m3fnuzEEEvPT1_PS4_PKfi.numbered_sgpr, 45
	.set _ZN4vllm24act_and_mul_quant_kernelIN3c104HalfETnPFT_RKS3_EXadL_ZNS_11silu_kernelIS2_EES3_S5_EENS1_15Float8_e4m3fnuzEEEvPT1_PS4_PKfi.num_named_barrier, 0
	.set _ZN4vllm24act_and_mul_quant_kernelIN3c104HalfETnPFT_RKS3_EXadL_ZNS_11silu_kernelIS2_EES3_S5_EENS1_15Float8_e4m3fnuzEEEvPT1_PS4_PKfi.private_seg_size, 0
	.set _ZN4vllm24act_and_mul_quant_kernelIN3c104HalfETnPFT_RKS3_EXadL_ZNS_11silu_kernelIS2_EES3_S5_EENS1_15Float8_e4m3fnuzEEEvPT1_PS4_PKfi.uses_vcc, 1
	.set _ZN4vllm24act_and_mul_quant_kernelIN3c104HalfETnPFT_RKS3_EXadL_ZNS_11silu_kernelIS2_EES3_S5_EENS1_15Float8_e4m3fnuzEEEvPT1_PS4_PKfi.uses_flat_scratch, 0
	.set _ZN4vllm24act_and_mul_quant_kernelIN3c104HalfETnPFT_RKS3_EXadL_ZNS_11silu_kernelIS2_EES3_S5_EENS1_15Float8_e4m3fnuzEEEvPT1_PS4_PKfi.has_dyn_sized_stack, 0
	.set _ZN4vllm24act_and_mul_quant_kernelIN3c104HalfETnPFT_RKS3_EXadL_ZNS_11silu_kernelIS2_EES3_S5_EENS1_15Float8_e4m3fnuzEEEvPT1_PS4_PKfi.has_recursion, 0
	.set _ZN4vllm24act_and_mul_quant_kernelIN3c104HalfETnPFT_RKS3_EXadL_ZNS_11silu_kernelIS2_EES3_S5_EENS1_15Float8_e4m3fnuzEEEvPT1_PS4_PKfi.has_indirect_call, 0
	.section	.AMDGPU.csdata,"",@progbits
; Kernel info:
; codeLenInByte = 6556
; TotalNumSgprs: 49
; NumVgprs: 33
; ScratchSize: 0
; MemoryBound: 0
; FloatMode: 240
; IeeeMode: 1
; LDSByteSize: 0 bytes/workgroup (compile time only)
; SGPRBlocks: 6
; VGPRBlocks: 8
; NumSGPRsForWavesPerEU: 49
; NumVGPRsForWavesPerEU: 33
; Occupancy: 7
; WaveLimiterHint : 0
; COMPUTE_PGM_RSRC2:SCRATCH_EN: 0
; COMPUTE_PGM_RSRC2:USER_SGPR: 6
; COMPUTE_PGM_RSRC2:TRAP_HANDLER: 0
; COMPUTE_PGM_RSRC2:TGID_X_EN: 1
; COMPUTE_PGM_RSRC2:TGID_Y_EN: 1
; COMPUTE_PGM_RSRC2:TGID_Z_EN: 0
; COMPUTE_PGM_RSRC2:TIDIG_COMP_CNT: 0
	.section	.text._ZN4vllm24act_and_mul_quant_kernelIN3c108BFloat16ETnPFT_RKS3_EXadL_ZNS_11silu_kernelIS2_EES3_S5_EENS1_13Float8_e4m3fnEEEvPT1_PS4_PKfi,"axG",@progbits,_ZN4vllm24act_and_mul_quant_kernelIN3c108BFloat16ETnPFT_RKS3_EXadL_ZNS_11silu_kernelIS2_EES3_S5_EENS1_13Float8_e4m3fnEEEvPT1_PS4_PKfi,comdat
	.protected	_ZN4vllm24act_and_mul_quant_kernelIN3c108BFloat16ETnPFT_RKS3_EXadL_ZNS_11silu_kernelIS2_EES3_S5_EENS1_13Float8_e4m3fnEEEvPT1_PS4_PKfi ; -- Begin function _ZN4vllm24act_and_mul_quant_kernelIN3c108BFloat16ETnPFT_RKS3_EXadL_ZNS_11silu_kernelIS2_EES3_S5_EENS1_13Float8_e4m3fnEEEvPT1_PS4_PKfi
	.globl	_ZN4vllm24act_and_mul_quant_kernelIN3c108BFloat16ETnPFT_RKS3_EXadL_ZNS_11silu_kernelIS2_EES3_S5_EENS1_13Float8_e4m3fnEEEvPT1_PS4_PKfi
	.p2align	8
	.type	_ZN4vllm24act_and_mul_quant_kernelIN3c108BFloat16ETnPFT_RKS3_EXadL_ZNS_11silu_kernelIS2_EES3_S5_EENS1_13Float8_e4m3fnEEEvPT1_PS4_PKfi,@function
_ZN4vllm24act_and_mul_quant_kernelIN3c108BFloat16ETnPFT_RKS3_EXadL_ZNS_11silu_kernelIS2_EES3_S5_EENS1_13Float8_e4m3fnEEEvPT1_PS4_PKfi: ; @_ZN4vllm24act_and_mul_quant_kernelIN3c108BFloat16ETnPFT_RKS3_EXadL_ZNS_11silu_kernelIS2_EES3_S5_EENS1_13Float8_e4m3fnEEEvPT1_PS4_PKfi
; %bb.0:
	s_load_dword s1, s[4:5], 0x24
	s_add_u32 s2, s4, 32
	s_mov_b32 s0, s7
	s_addc_u32 s3, s5, 0
	s_load_dword s33, s[4:5], 0x18
	s_load_dwordx4 s[20:23], s[4:5], 0x0
	s_waitcnt lgkmcnt(0)
	s_abs_i32 s7, s1
	v_cvt_f32_u32_e32 v1, s7
	s_sub_i32 s9, 0, s7
	s_add_i32 s8, s33, s1
	s_add_i32 s8, s8, -1
	v_rcp_iflag_f32_e32 v1, v1
	s_xor_b32 s1, s8, s1
	s_abs_i32 s8, s8
	s_ashr_i32 s1, s1, 31
	v_mul_f32_e32 v1, 0x4f7ffffe, v1
	v_cvt_u32_f32_e32 v1, v1
	v_readfirstlane_b32 s10, v1
	s_mul_i32 s9, s9, s10
	s_mul_hi_u32 s9, s10, s9
	s_add_i32 s10, s10, s9
	s_mul_hi_u32 s9, s8, s10
	s_mul_i32 s10, s9, s7
	s_sub_i32 s8, s8, s10
	s_add_i32 s10, s9, 1
	s_sub_i32 s11, s8, s7
	s_cmp_ge_u32 s8, s7
	s_cselect_b32 s9, s10, s9
	s_cselect_b32 s8, s11, s8
	s_add_i32 s10, s9, 1
	s_cmp_ge_u32 s8, s7
	s_cselect_b32 s7, s10, s9
	s_xor_b32 s7, s7, s1
	s_sub_i32 s1, s7, s1
	s_and_b32 s7, s1, 7
	s_cmp_eq_u32 s7, 0
	s_mov_b32 s7, 0
	s_cbranch_scc1 .LBB4_2
; %bb.1:
	s_ashr_i32 s8, s1, 31
	s_lshr_b32 s8, s8, 29
	s_add_i32 s1, s1, s8
	s_and_b32 s1, s1, -8
	s_add_i32 s1, s1, 8
.LBB4_2:
	s_load_dwordx2 s[4:5], s[4:5], 0x10
	s_mul_i32 s8, s1, s0
	s_add_i32 s0, s8, s1
	s_min_i32 s24, s0, s33
	s_ashr_i32 s34, s33, 31
	s_waitcnt lgkmcnt(0)
	s_load_dword s4, s[4:5], 0x0
	s_abs_i32 s5, s24
	v_cvt_f32_u32_e32 v1, s5
	s_mul_i32 s26, s33, s6
	s_waitcnt lgkmcnt(0)
	v_div_scale_f32 v2, s[0:1], s4, s4, 1.0
	v_div_scale_f32 v3, vcc, 1.0, s4, 1.0
	v_rcp_iflag_f32_e32 v1, v1
	s_mul_hi_u32 s0, s33, s6
	s_mul_i32 s1, s34, s6
	s_add_i32 s27, s0, s1
	v_mul_f32_e32 v1, 0x4f7ffffe, v1
	v_cvt_u32_f32_e32 v1, v1
	s_sub_i32 s0, 0, s5
	v_readfirstlane_b32 s1, v1
	s_mul_i32 s0, s0, s1
	s_mul_hi_u32 s0, s1, s0
	v_rcp_f32_e32 v1, v2
	s_add_i32 s1, s1, s0
	s_lshr_b32 s0, s1, 29
	s_mul_i32 s0, s0, s5
	v_fma_f32 v4, -v2, v1, 1.0
	v_fmac_f32_e32 v1, v4, v1
	v_mul_f32_e32 v4, v3, v1
	v_fma_f32 v5, -v2, v4, v3
	v_fmac_f32_e32 v4, v5, v1
	v_fma_f32 v2, -v2, v4, v3
	v_div_fmas_f32 v1, v2, v1, v4
	s_sub_i32 s0, 8, s0
	s_sub_i32 s1, s0, s5
	s_cmp_ge_u32 s0, s5
	s_cselect_b32 s0, s1, s0
	s_sub_i32 s1, s0, s5
	s_cmp_ge_u32 s0, s5
	s_cselect_b32 s25, s1, s0
	s_cmp_eq_u32 s25, 0
	s_cselect_b64 s[0:1], -1, 0
	v_cndmask_b32_e64 v20, 0, 1, s[0:1]
	s_ashr_i32 s0, s8, 31
	s_lshr_b32 s0, s0, 29
	s_add_i32 s8, s8, s0
	s_ashr_i32 s0, s8, 3
	v_add_u32_e32 v21, s0, v0
	v_div_fixup_f32 v19, v1, s4, 1.0
	v_cmp_lt_i32_e32 vcc, v21, v20
	s_and_saveexec_b64 s[4:5], vcc
	s_cbranch_execz .LBB4_133
; %bb.3:
	s_load_dword s1, s[2:3], 0xc
	s_ashr_i32 s10, s0, 31
	v_add_co_u32_e32 v1, vcc, s0, v0
	v_mov_b32_e32 v2, s10
	s_waitcnt lgkmcnt(0)
	s_and_b32 s30, s1, 0xffff
	s_lshl_b64 s[0:1], s[6:7], 2
	s_or_b32 s0, s0, 2
	v_addc_co_u32_e32 v2, vcc, 0, v2, vcc
	s_mul_i32 s10, s0, s34
	s_mul_hi_u32 s11, s0, s33
	v_lshlrev_b64 v[3:4], 4, v[1:2]
	s_add_i32 s10, s11, s10
	s_mul_i32 s1, s1, s33
	s_lshl_b64 s[8:9], s[26:27], 2
	s_lshl_b32 s31, s30, 4
	s_add_i32 s1, s10, s1
	v_mov_b32_e32 v5, s23
	v_add_co_u32_e32 v22, vcc, s22, v3
	s_mul_i32 s35, s0, s33
	v_lshlrev_b64 v[1:2], 3, v[1:2]
	s_add_u32 s0, s20, s26
	v_addc_co_u32_e32 v23, vcc, v5, v4, vcc
	s_addc_u32 s10, s21, s27
	v_mov_b32_e32 v3, s10
	v_add_co_u32_e32 v11, vcc, s0, v1
	v_mov_b32_e32 v10, 0
	v_addc_co_u32_e32 v12, vcc, v3, v2, vcc
	s_lshl_b32 s36, s30, 3
	s_mov_b64 s[10:11], 0
	v_mov_b32_e32 v24, s9
	v_mov_b32_e32 v25, s1
	s_movk_i32 s9, 0x7fff
	v_mov_b32_e32 v26, 0x7fc00000
	s_mov_b32 s37, 0x3fb8aa3b
	s_mov_b32 s38, 0xc2ce8ed0
	;; [unrolled: 1-line block ×3, first 2 shown]
	v_mov_b32_e32 v27, 0x7f800000
	s_mov_b64 s[12:13], 0x7f800000
	s_movk_i32 s40, 0x80
	s_mov_b64 s[14:15], 0x43e00001
	s_movk_i32 s41, 0x79
	s_movk_i32 s42, 0x7f
	s_mov_b32 s43, 0xff00
	s_mov_b32 s44, 0x4020c0c
	v_mov_b32_e32 v28, 0x78
	v_mov_b32_e32 v29, 0xffffff89
	s_branch .LBB4_5
.LBB4_4:                                ;   in Loop: Header=BB4_5 Depth=1
	s_or_b64 exec, exec, s[0:1]
	v_lshlrev_b32_e32 v4, 16, v6
	v_lshlrev_b32_e32 v3, 24, v7
	v_and_b32_e32 v4, 0xff0000, v4
	v_lshlrev_b32_e32 v2, 8, v2
	v_or_b32_e32 v3, v3, v4
	v_and_b32_e32 v2, 0xff00, v2
	v_and_b32_e32 v4, 0xff, v5
	v_or3_b32 v2, v3, v2, v4
	v_lshlrev_b32_e32 v3, 16, v15
	v_lshlrev_b32_e32 v4, 8, v14
	v_perm_b32 v1, v1, v3, s44
	v_add_co_u32_e32 v22, vcc, s31, v22
	v_and_or_b32 v1, v4, s43, v1
	v_add_u32_e32 v21, s30, v21
	v_addc_co_u32_e32 v23, vcc, 0, v23, vcc
	v_or_b32_sdwa v1, v1, v13 dst_sel:DWORD dst_unused:UNUSED_PAD src0_sel:DWORD src1_sel:BYTE_0
	v_cmp_ge_i32_e32 vcc, v21, v20
	global_store_dwordx2 v[11:12], v[1:2], off
	s_or_b64 s[10:11], vcc, s[10:11]
	v_add_co_u32_e32 v11, vcc, s36, v11
	v_addc_co_u32_e32 v12, vcc, 0, v12, vcc
	s_andn2_b64 exec, exec, s[10:11]
	s_cbranch_execz .LBB4_133
.LBB4_5:                                ; =>This Inner Loop Header: Depth=1
	v_add_co_u32_e32 v1, vcc, s8, v22
	v_addc_co_u32_e32 v2, vcc, v23, v24, vcc
	global_load_dwordx4 v[5:8], v[1:2], off
	v_add_co_u32_e32 v1, vcc, s35, v22
	v_addc_co_u32_e32 v2, vcc, v23, v25, vcc
	global_load_dwordx4 v[1:4], v[1:2], off
	s_waitcnt vmcnt(1)
	v_lshlrev_b32_e32 v9, 16, v5
	v_xor_b32_e32 v13, 0x80000000, v9
	v_bfe_u32 v14, v13, 16, 1
	v_add3_u32 v13, v13, v14, s9
	v_and_b32_e32 v13, 0xffff0000, v13
	v_cmp_o_f32_e32 vcc, v9, v9
	v_cndmask_b32_e32 v13, v26, v13, vcc
	v_mul_f32_e32 v14, 0x3fb8aa3b, v13
	v_fma_f32 v15, v13, s37, -v14
	v_rndne_f32_e32 v16, v14
	v_fmac_f32_e32 v15, 0x32a5705f, v13
	v_sub_f32_e32 v14, v14, v16
	v_add_f32_e32 v14, v14, v15
	v_cvt_i32_f32_e32 v16, v16
	v_exp_f32_e32 v14, v14
	v_cmp_ngt_f32_e32 vcc, s38, v13
	v_ldexp_f32 v14, v14, v16
	v_cndmask_b32_e32 v14, 0, v14, vcc
	v_cmp_nlt_f32_e32 vcc, s39, v13
	v_cndmask_b32_e32 v13, v27, v14, vcc
	v_add_f32_e32 v13, 1.0, v13
	v_div_scale_f32 v14, s[0:1], v13, v13, v9
	v_div_scale_f32 v15, vcc, v9, v13, v9
	v_rcp_f32_e32 v16, v14
	v_fma_f32 v17, -v14, v16, 1.0
	v_fmac_f32_e32 v16, v17, v16
	v_mul_f32_e32 v17, v15, v16
	v_fma_f32 v18, -v14, v17, v15
	v_fmac_f32_e32 v17, v18, v16
	v_fma_f32 v14, -v14, v17, v15
	v_div_fmas_f32 v14, v14, v16, v17
	s_waitcnt vmcnt(0)
	v_lshlrev_b32_e32 v15, 16, v1
	v_div_fixup_f32 v9, v14, v13, v9
	v_bfe_u32 v13, v9, 16, 1
	v_add3_u32 v13, v9, v13, s9
	v_and_b32_e32 v13, 0xffff0000, v13
	v_cmp_o_f32_e32 vcc, v9, v9
	v_cndmask_b32_e32 v9, v26, v13, vcc
	v_mul_f32_e32 v9, v9, v15
	v_bfe_u32 v13, v9, 16, 1
	v_add3_u32 v13, v9, v13, s9
	v_and_b32_e32 v13, 0xffff0000, v13
	v_cmp_o_f32_e32 vcc, v9, v9
	v_cndmask_b32_e32 v9, v26, v13, vcc
	v_mul_f32_e32 v9, v19, v9
	v_min_f32_e32 v9, 0x43e00000, v9
	v_max_f32_e32 v16, 0xc3e00000, v9
	v_and_b32_e32 v9, 0x7f800000, v16
	v_cmp_ne_u64_e32 vcc, s[12:13], v[9:10]
                                        ; implicit-def: $vgpr13_vgpr14
	s_and_saveexec_b64 s[0:1], vcc
	s_xor_b64 s[16:17], exec, s[0:1]
	s_cbranch_execz .LBB4_19
; %bb.6:                                ;   in Loop: Header=BB4_5 Depth=1
	v_and_b32_e32 v9, 0x7fffffff, v16
	v_cmp_gt_u64_e32 vcc, s[14:15], v[9:10]
	v_and_b32_sdwa v15, v16, s40 dst_sel:DWORD dst_unused:UNUSED_PAD src0_sel:BYTE_3 src1_sel:DWORD
                                        ; implicit-def: $vgpr13_vgpr14
	s_and_saveexec_b64 s[0:1], vcc
	s_xor_b64 s[18:19], exec, s[0:1]
	s_cbranch_execz .LBB4_16
; %bb.7:                                ;   in Loop: Header=BB4_5 Depth=1
	v_mov_b32_e32 v13, 0
	v_cmp_ne_u32_e32 vcc, 0, v16
	v_mov_b32_e32 v14, 0
	s_and_saveexec_b64 s[28:29], vcc
	s_cbranch_execz .LBB4_15
; %bb.8:                                ;   in Loop: Header=BB4_5 Depth=1
	v_bfe_u32 v18, v16, 23, 8
	v_sub_u32_e64 v13, s41, v18 clamp
	v_cmp_eq_u32_e32 vcc, 0, v18
	v_and_b32_e32 v9, 0x7fffff, v16
	v_cndmask_b32_e32 v30, v13, v28, vcc
	v_or_b32_e32 v16, 0x800000, v9
	v_add_u32_e32 v13, 20, v30
	v_lshlrev_b64 v[13:14], v13, -1
	v_cndmask_b32_e32 v9, v16, v9, vcc
	v_add_u32_e32 v16, 19, v30
	v_lshlrev_b64 v[16:17], v16, 1
	v_bfi_b32 v14, v14, 0, 0
	v_bfi_b32 v13, v13, 0, v9
	v_cmp_eq_u64_e64 s[0:1], v[13:14], v[16:17]
	v_lshrrev_b64 v[13:14], v30, v[9:10]
	v_add_u32_e32 v9, 0xffffff88, v18
	v_cndmask_b32_e32 v9, v9, v29, vcc
	v_lshrrev_b32_e32 v14, 23, v13
	v_add3_u32 v16, v9, v30, v14
	v_and_b32_e32 v9, 0x100000, v13
	v_cmp_eq_u64_e32 vcc, 0, v[9:10]
	v_add_u32_e32 v17, -1, v16
	s_and_b64 vcc, vcc, s[0:1]
	v_subbrev_co_u32_e32 v9, vcc, 0, v13, vcc
	v_and_b32_e32 v9, 0xfffff, v9
	v_add_u32_e32 v9, v9, v13
	v_cmp_ne_u32_e32 vcc, 0, v17
                                        ; implicit-def: $vgpr13_vgpr14
                                        ; implicit-def: $vgpr18
	s_and_saveexec_b64 s[0:1], vcc
	s_xor_b64 s[0:1], exec, s[0:1]
; %bb.9:                                ;   in Loop: Header=BB4_5 Depth=1
	v_and_b32_e32 v30, 0x1000000, v9
	v_mov_b32_e32 v31, v10
	v_cmp_eq_u64_e32 vcc, 0, v[30:31]
	v_bfe_u32 v13, v9, 24, 1
	v_lshrrev_b64 v[13:14], v13, v[9:10]
	v_cndmask_b32_e32 v18, v16, v17, vcc
; %bb.10:                               ;   in Loop: Header=BB4_5 Depth=1
	s_andn2_saveexec_b64 s[0:1], s[0:1]
; %bb.11:                               ;   in Loop: Header=BB4_5 Depth=1
	v_mov_b32_e32 v14, v10
	v_bfe_u32 v18, v9, 23, 1
	v_mov_b32_e32 v13, v9
; %bb.12:                               ;   in Loop: Header=BB4_5 Depth=1
	s_or_b64 exec, exec, s[0:1]
	v_lshrrev_b64 v[13:14], 20, v[13:14]
	v_cmp_gt_i32_e32 vcc, 16, v18
	v_cndmask_b32_e32 v17, 0, v14, vcc
	v_cndmask_b32_e32 v16, 7, v13, vcc
	v_cmp_ne_u64_e32 vcc, 0, v[16:17]
	v_cmp_ne_u32_e64 s[0:1], 0, v18
	s_or_b64 s[0:1], s[0:1], vcc
	v_mov_b32_e32 v13, v15
	v_mov_b32_e32 v14, v16
	s_and_saveexec_b64 s[46:47], s[0:1]
	s_xor_b64 s[0:1], exec, s[46:47]
; %bb.13:                               ;   in Loop: Header=BB4_5 Depth=1
	v_min_i32_e32 v9, 15, v18
	v_lshl_or_b32 v9, v9, 3, v15
	v_and_or_b32 v13, v16, 7, v9
; %bb.14:                               ;   in Loop: Header=BB4_5 Depth=1
	s_andn2_saveexec_b64 s[0:1], s[0:1]
	s_or_b64 exec, exec, s[0:1]
.LBB4_15:                               ;   in Loop: Header=BB4_5 Depth=1
	s_or_b64 exec, exec, s[28:29]
                                        ; implicit-def: $vgpr15
.LBB4_16:                               ;   in Loop: Header=BB4_5 Depth=1
	s_andn2_saveexec_b64 s[0:1], s[18:19]
; %bb.17:                               ;   in Loop: Header=BB4_5 Depth=1
	v_or_b32_e32 v13, 0x7e, v15
; %bb.18:                               ;   in Loop: Header=BB4_5 Depth=1
	s_or_b64 exec, exec, s[0:1]
                                        ; implicit-def: $vgpr16
.LBB4_19:                               ;   in Loop: Header=BB4_5 Depth=1
	s_andn2_saveexec_b64 s[0:1], s[16:17]
; %bb.20:                               ;   in Loop: Header=BB4_5 Depth=1
	v_or_b32_sdwa v13, v16, s42 dst_sel:DWORD dst_unused:UNUSED_PAD src0_sel:BYTE_3 src1_sel:DWORD
; %bb.21:                               ;   in Loop: Header=BB4_5 Depth=1
	s_or_b64 exec, exec, s[0:1]
	v_and_b32_e32 v5, 0xffff0000, v5
	v_xor_b32_e32 v9, 0x80000000, v5
	v_bfe_u32 v14, v9, 16, 1
	v_add3_u32 v9, v9, v14, s9
	v_and_b32_e32 v9, 0xffff0000, v9
	v_cmp_o_f32_e32 vcc, v5, v5
	v_cndmask_b32_e32 v9, v26, v9, vcc
	v_mul_f32_e32 v14, 0x3fb8aa3b, v9
	v_fma_f32 v15, v9, s37, -v14
	v_rndne_f32_e32 v16, v14
	v_fmac_f32_e32 v15, 0x32a5705f, v9
	v_sub_f32_e32 v14, v14, v16
	v_add_f32_e32 v14, v14, v15
	v_exp_f32_e32 v14, v14
	v_cvt_i32_f32_e32 v15, v16
	v_cmp_ngt_f32_e32 vcc, s38, v9
	v_and_b32_e32 v1, 0xffff0000, v1
	v_ldexp_f32 v14, v14, v15
	v_cndmask_b32_e32 v14, 0, v14, vcc
	v_cmp_nlt_f32_e32 vcc, s39, v9
	v_cndmask_b32_e32 v9, v27, v14, vcc
	v_add_f32_e32 v9, 1.0, v9
	v_div_scale_f32 v14, s[0:1], v9, v9, v5
	v_div_scale_f32 v15, vcc, v5, v9, v5
	v_rcp_f32_e32 v16, v14
	v_fma_f32 v17, -v14, v16, 1.0
	v_fmac_f32_e32 v16, v17, v16
	v_mul_f32_e32 v17, v15, v16
	v_fma_f32 v18, -v14, v17, v15
	v_fmac_f32_e32 v17, v18, v16
	v_fma_f32 v14, -v14, v17, v15
	v_div_fmas_f32 v14, v14, v16, v17
	v_div_fixup_f32 v5, v14, v9, v5
	v_bfe_u32 v9, v5, 16, 1
	v_add3_u32 v9, v5, v9, s9
	v_and_b32_e32 v9, 0xffff0000, v9
	v_cmp_o_f32_e32 vcc, v5, v5
	v_cndmask_b32_e32 v5, v26, v9, vcc
	v_mul_f32_e32 v1, v5, v1
	v_bfe_u32 v5, v1, 16, 1
	v_add3_u32 v5, v1, v5, s9
	v_and_b32_e32 v5, 0xffff0000, v5
	v_cmp_o_f32_e32 vcc, v1, v1
	v_cndmask_b32_e32 v1, v26, v5, vcc
	v_mul_f32_e32 v1, v19, v1
	v_min_f32_e32 v1, 0x43e00000, v1
	v_max_f32_e32 v5, 0xc3e00000, v1
	v_and_b32_e32 v9, 0x7f800000, v5
	v_cmp_ne_u64_e32 vcc, s[12:13], v[9:10]
                                        ; implicit-def: $vgpr14_vgpr15
	s_and_saveexec_b64 s[0:1], vcc
	s_xor_b64 s[16:17], exec, s[0:1]
	s_cbranch_execz .LBB4_35
; %bb.22:                               ;   in Loop: Header=BB4_5 Depth=1
	v_and_b32_e32 v9, 0x7fffffff, v5
	v_cmp_gt_u64_e32 vcc, s[14:15], v[9:10]
	v_and_b32_sdwa v1, v5, s40 dst_sel:DWORD dst_unused:UNUSED_PAD src0_sel:BYTE_3 src1_sel:DWORD
                                        ; implicit-def: $vgpr14_vgpr15
	s_and_saveexec_b64 s[0:1], vcc
	s_xor_b64 s[18:19], exec, s[0:1]
	s_cbranch_execz .LBB4_32
; %bb.23:                               ;   in Loop: Header=BB4_5 Depth=1
	v_mov_b32_e32 v14, 0
	v_cmp_ne_u32_e32 vcc, 0, v5
	v_mov_b32_e32 v15, 0
	s_and_saveexec_b64 s[28:29], vcc
	s_cbranch_execz .LBB4_31
; %bb.24:                               ;   in Loop: Header=BB4_5 Depth=1
	v_and_b32_e32 v9, 0x7fffff, v5
	v_bfe_u32 v5, v5, 23, 8
	v_sub_u32_e64 v14, s41, v5 clamp
	v_cmp_eq_u32_e32 vcc, 0, v5
	v_cndmask_b32_e32 v18, v14, v28, vcc
	v_or_b32_e32 v16, 0x800000, v9
	v_add_u32_e32 v14, 20, v18
	v_lshlrev_b64 v[14:15], v14, -1
	v_cndmask_b32_e32 v9, v16, v9, vcc
	v_add_u32_e32 v16, 19, v18
	v_lshlrev_b64 v[16:17], v16, 1
	v_bfi_b32 v15, v15, 0, 0
	v_bfi_b32 v14, v14, 0, v9
	v_cmp_eq_u64_e64 s[0:1], v[14:15], v[16:17]
	v_lshrrev_b64 v[14:15], v18, v[9:10]
	v_add_u32_e32 v5, 0xffffff88, v5
	v_cndmask_b32_e32 v5, v5, v29, vcc
	v_lshrrev_b32_e32 v9, 23, v14
	v_add3_u32 v16, v5, v18, v9
	v_and_b32_e32 v9, 0x100000, v14
	v_cmp_eq_u64_e32 vcc, 0, v[9:10]
	v_add_u32_e32 v17, -1, v16
	s_and_b64 vcc, vcc, s[0:1]
	v_subbrev_co_u32_e32 v5, vcc, 0, v14, vcc
	v_and_b32_e32 v5, 0xfffff, v5
	v_add_u32_e32 v9, v5, v14
	v_cmp_ne_u32_e32 vcc, 0, v17
                                        ; implicit-def: $vgpr14_vgpr15
                                        ; implicit-def: $vgpr5
	s_and_saveexec_b64 s[0:1], vcc
	s_xor_b64 s[0:1], exec, s[0:1]
; %bb.25:                               ;   in Loop: Header=BB4_5 Depth=1
	v_and_b32_e32 v30, 0x1000000, v9
	v_mov_b32_e32 v31, v10
	v_bfe_u32 v5, v9, 24, 1
	v_cmp_eq_u64_e32 vcc, 0, v[30:31]
	v_lshrrev_b64 v[14:15], v5, v[9:10]
	v_cndmask_b32_e32 v5, v16, v17, vcc
; %bb.26:                               ;   in Loop: Header=BB4_5 Depth=1
	s_andn2_saveexec_b64 s[0:1], s[0:1]
; %bb.27:                               ;   in Loop: Header=BB4_5 Depth=1
	v_mov_b32_e32 v15, v10
	v_bfe_u32 v5, v9, 23, 1
	v_mov_b32_e32 v14, v9
; %bb.28:                               ;   in Loop: Header=BB4_5 Depth=1
	s_or_b64 exec, exec, s[0:1]
	v_lshrrev_b64 v[14:15], 20, v[14:15]
	v_cmp_gt_i32_e32 vcc, 16, v5
	v_cndmask_b32_e32 v17, 0, v15, vcc
	v_cndmask_b32_e32 v16, 7, v14, vcc
	v_cmp_ne_u64_e32 vcc, 0, v[16:17]
	v_cmp_ne_u32_e64 s[0:1], 0, v5
	v_mov_b32_e32 v15, v2
	s_or_b64 s[0:1], s[0:1], vcc
	v_mov_b32_e32 v14, v1
	s_and_saveexec_b64 s[46:47], s[0:1]
	s_xor_b64 s[0:1], exec, s[46:47]
; %bb.29:                               ;   in Loop: Header=BB4_5 Depth=1
	v_min_i32_e32 v5, 15, v5
	v_lshl_or_b32 v1, v5, 3, v1
	v_and_or_b32 v14, v16, 7, v1
; %bb.30:                               ;   in Loop: Header=BB4_5 Depth=1
	s_andn2_saveexec_b64 s[0:1], s[0:1]
	s_or_b64 exec, exec, s[0:1]
.LBB4_31:                               ;   in Loop: Header=BB4_5 Depth=1
	s_or_b64 exec, exec, s[28:29]
                                        ; implicit-def: $vgpr1
.LBB4_32:                               ;   in Loop: Header=BB4_5 Depth=1
	s_andn2_saveexec_b64 s[0:1], s[18:19]
; %bb.33:                               ;   in Loop: Header=BB4_5 Depth=1
	v_or_b32_e32 v14, 0x7e, v1
; %bb.34:                               ;   in Loop: Header=BB4_5 Depth=1
	s_or_b64 exec, exec, s[0:1]
                                        ; implicit-def: $vgpr5
.LBB4_35:                               ;   in Loop: Header=BB4_5 Depth=1
	s_andn2_saveexec_b64 s[0:1], s[16:17]
; %bb.36:                               ;   in Loop: Header=BB4_5 Depth=1
	v_or_b32_sdwa v14, v5, s42 dst_sel:DWORD dst_unused:UNUSED_PAD src0_sel:BYTE_3 src1_sel:DWORD
; %bb.37:                               ;   in Loop: Header=BB4_5 Depth=1
	s_or_b64 exec, exec, s[0:1]
	v_lshlrev_b32_e32 v1, 16, v6
	v_xor_b32_e32 v5, 0x80000000, v1
	v_bfe_u32 v9, v5, 16, 1
	v_add3_u32 v5, v5, v9, s9
	v_and_b32_e32 v5, 0xffff0000, v5
	v_cmp_o_f32_e32 vcc, v1, v1
	v_cndmask_b32_e32 v5, v26, v5, vcc
	v_mul_f32_e32 v9, 0x3fb8aa3b, v5
	v_fma_f32 v15, v5, s37, -v9
	v_rndne_f32_e32 v16, v9
	v_fmac_f32_e32 v15, 0x32a5705f, v5
	v_sub_f32_e32 v9, v9, v16
	v_add_f32_e32 v9, v9, v15
	v_exp_f32_e32 v9, v9
	v_cvt_i32_f32_e32 v15, v16
	v_cmp_ngt_f32_e32 vcc, s38, v5
	v_ldexp_f32 v9, v9, v15
	v_cndmask_b32_e32 v9, 0, v9, vcc
	v_cmp_nlt_f32_e32 vcc, s39, v5
	v_cndmask_b32_e32 v5, v27, v9, vcc
	v_add_f32_e32 v5, 1.0, v5
	v_div_scale_f32 v9, s[0:1], v5, v5, v1
	v_div_scale_f32 v15, vcc, v1, v5, v1
	v_rcp_f32_e32 v16, v9
	v_fma_f32 v17, -v9, v16, 1.0
	v_fmac_f32_e32 v16, v17, v16
	v_mul_f32_e32 v17, v15, v16
	v_fma_f32 v18, -v9, v17, v15
	v_fmac_f32_e32 v17, v18, v16
	v_fma_f32 v9, -v9, v17, v15
	v_div_fmas_f32 v9, v9, v16, v17
	v_lshlrev_b32_e32 v15, 16, v2
	v_div_fixup_f32 v1, v9, v5, v1
	v_bfe_u32 v5, v1, 16, 1
	v_add3_u32 v5, v1, v5, s9
	v_and_b32_e32 v5, 0xffff0000, v5
	v_cmp_o_f32_e32 vcc, v1, v1
	v_cndmask_b32_e32 v1, v26, v5, vcc
	v_mul_f32_e32 v1, v1, v15
	v_bfe_u32 v5, v1, 16, 1
	v_add3_u32 v5, v1, v5, s9
	v_and_b32_e32 v5, 0xffff0000, v5
	v_cmp_o_f32_e32 vcc, v1, v1
	v_cndmask_b32_e32 v1, v26, v5, vcc
	v_mul_f32_e32 v1, v19, v1
	v_min_f32_e32 v1, 0x43e00000, v1
	v_max_f32_e32 v5, 0xc3e00000, v1
	v_and_b32_e32 v9, 0x7f800000, v5
	v_cmp_ne_u64_e32 vcc, s[12:13], v[9:10]
                                        ; implicit-def: $vgpr15_vgpr16
	s_and_saveexec_b64 s[0:1], vcc
	s_xor_b64 s[16:17], exec, s[0:1]
	s_cbranch_execz .LBB4_51
; %bb.38:                               ;   in Loop: Header=BB4_5 Depth=1
	v_and_b32_e32 v9, 0x7fffffff, v5
	v_cmp_gt_u64_e32 vcc, s[14:15], v[9:10]
	v_and_b32_sdwa v1, v5, s40 dst_sel:DWORD dst_unused:UNUSED_PAD src0_sel:BYTE_3 src1_sel:DWORD
                                        ; implicit-def: $vgpr15_vgpr16
	s_and_saveexec_b64 s[0:1], vcc
	s_xor_b64 s[18:19], exec, s[0:1]
	s_cbranch_execz .LBB4_48
; %bb.39:                               ;   in Loop: Header=BB4_5 Depth=1
	v_mov_b32_e32 v15, 0
	v_cmp_ne_u32_e32 vcc, 0, v5
	v_mov_b32_e32 v16, 0
	s_and_saveexec_b64 s[28:29], vcc
	s_cbranch_execz .LBB4_47
; %bb.40:                               ;   in Loop: Header=BB4_5 Depth=1
	v_and_b32_e32 v9, 0x7fffff, v5
	v_bfe_u32 v5, v5, 23, 8
	v_sub_u32_e64 v15, s41, v5 clamp
	v_cmp_eq_u32_e32 vcc, 0, v5
	v_cndmask_b32_e32 v30, v15, v28, vcc
	v_or_b32_e32 v17, 0x800000, v9
	v_add_u32_e32 v15, 20, v30
	v_lshlrev_b64 v[15:16], v15, -1
	v_cndmask_b32_e32 v9, v17, v9, vcc
	v_add_u32_e32 v17, 19, v30
	v_lshlrev_b64 v[17:18], v17, 1
	v_bfi_b32 v16, v16, 0, 0
	v_bfi_b32 v15, v15, 0, v9
	v_cmp_eq_u64_e64 s[0:1], v[15:16], v[17:18]
	v_lshrrev_b64 v[15:16], v30, v[9:10]
	v_add_u32_e32 v5, 0xffffff88, v5
	v_cndmask_b32_e32 v5, v5, v29, vcc
	v_lshrrev_b32_e32 v9, 23, v15
	v_add3_u32 v17, v5, v30, v9
	v_and_b32_e32 v9, 0x100000, v15
	v_cmp_eq_u64_e32 vcc, 0, v[9:10]
	v_add_u32_e32 v18, -1, v17
	s_and_b64 vcc, vcc, s[0:1]
	v_subbrev_co_u32_e32 v5, vcc, 0, v15, vcc
	v_and_b32_e32 v5, 0xfffff, v5
	v_add_u32_e32 v9, v5, v15
	v_cmp_ne_u32_e32 vcc, 0, v18
                                        ; implicit-def: $vgpr15_vgpr16
                                        ; implicit-def: $vgpr5
	s_and_saveexec_b64 s[0:1], vcc
	s_xor_b64 s[0:1], exec, s[0:1]
; %bb.41:                               ;   in Loop: Header=BB4_5 Depth=1
	v_and_b32_e32 v30, 0x1000000, v9
	v_mov_b32_e32 v31, v10
	v_bfe_u32 v5, v9, 24, 1
	v_cmp_eq_u64_e32 vcc, 0, v[30:31]
	v_lshrrev_b64 v[15:16], v5, v[9:10]
	v_cndmask_b32_e32 v5, v17, v18, vcc
; %bb.42:                               ;   in Loop: Header=BB4_5 Depth=1
	s_andn2_saveexec_b64 s[0:1], s[0:1]
; %bb.43:                               ;   in Loop: Header=BB4_5 Depth=1
	v_mov_b32_e32 v16, v10
	v_bfe_u32 v5, v9, 23, 1
	v_mov_b32_e32 v15, v9
; %bb.44:                               ;   in Loop: Header=BB4_5 Depth=1
	s_or_b64 exec, exec, s[0:1]
	v_lshrrev_b64 v[15:16], 20, v[15:16]
	v_cmp_gt_i32_e32 vcc, 16, v5
	v_cndmask_b32_e32 v18, 0, v16, vcc
	v_cndmask_b32_e32 v17, 7, v15, vcc
	v_cmp_ne_u64_e32 vcc, 0, v[17:18]
	v_cmp_ne_u32_e64 s[0:1], 0, v5
	v_mov_b32_e32 v16, v2
	s_or_b64 s[0:1], s[0:1], vcc
	v_mov_b32_e32 v15, v1
	s_and_saveexec_b64 s[46:47], s[0:1]
	s_xor_b64 s[0:1], exec, s[46:47]
; %bb.45:                               ;   in Loop: Header=BB4_5 Depth=1
	v_min_i32_e32 v5, 15, v5
	v_lshl_or_b32 v1, v5, 3, v1
	v_and_or_b32 v15, v17, 7, v1
; %bb.46:                               ;   in Loop: Header=BB4_5 Depth=1
	s_andn2_saveexec_b64 s[0:1], s[0:1]
	s_or_b64 exec, exec, s[0:1]
.LBB4_47:                               ;   in Loop: Header=BB4_5 Depth=1
	s_or_b64 exec, exec, s[28:29]
                                        ; implicit-def: $vgpr1
.LBB4_48:                               ;   in Loop: Header=BB4_5 Depth=1
	s_andn2_saveexec_b64 s[0:1], s[18:19]
; %bb.49:                               ;   in Loop: Header=BB4_5 Depth=1
	v_or_b32_e32 v15, 0x7e, v1
; %bb.50:                               ;   in Loop: Header=BB4_5 Depth=1
	s_or_b64 exec, exec, s[0:1]
                                        ; implicit-def: $vgpr5
.LBB4_51:                               ;   in Loop: Header=BB4_5 Depth=1
	s_andn2_saveexec_b64 s[0:1], s[16:17]
; %bb.52:                               ;   in Loop: Header=BB4_5 Depth=1
	v_or_b32_sdwa v15, v5, s42 dst_sel:DWORD dst_unused:UNUSED_PAD src0_sel:BYTE_3 src1_sel:DWORD
; %bb.53:                               ;   in Loop: Header=BB4_5 Depth=1
	s_or_b64 exec, exec, s[0:1]
	v_and_b32_e32 v1, 0xffff0000, v6
	v_xor_b32_e32 v5, 0x80000000, v1
	v_bfe_u32 v6, v5, 16, 1
	v_add3_u32 v5, v5, v6, s9
	v_and_b32_e32 v5, 0xffff0000, v5
	v_cmp_o_f32_e32 vcc, v1, v1
	v_cndmask_b32_e32 v5, v26, v5, vcc
	v_mul_f32_e32 v6, 0x3fb8aa3b, v5
	v_fma_f32 v9, v5, s37, -v6
	v_rndne_f32_e32 v16, v6
	v_fmac_f32_e32 v9, 0x32a5705f, v5
	v_sub_f32_e32 v6, v6, v16
	v_add_f32_e32 v6, v6, v9
	v_exp_f32_e32 v6, v6
	v_cvt_i32_f32_e32 v9, v16
	v_cmp_ngt_f32_e32 vcc, s38, v5
	v_and_b32_e32 v2, 0xffff0000, v2
	v_ldexp_f32 v6, v6, v9
	v_cndmask_b32_e32 v6, 0, v6, vcc
	v_cmp_nlt_f32_e32 vcc, s39, v5
	v_cndmask_b32_e32 v5, v27, v6, vcc
	v_add_f32_e32 v5, 1.0, v5
	v_div_scale_f32 v6, s[0:1], v5, v5, v1
	v_div_scale_f32 v9, vcc, v1, v5, v1
	v_rcp_f32_e32 v16, v6
	v_fma_f32 v17, -v6, v16, 1.0
	v_fmac_f32_e32 v16, v17, v16
	v_mul_f32_e32 v17, v9, v16
	v_fma_f32 v18, -v6, v17, v9
	v_fmac_f32_e32 v17, v18, v16
	v_fma_f32 v6, -v6, v17, v9
	v_div_fmas_f32 v6, v6, v16, v17
	v_div_fixup_f32 v1, v6, v5, v1
	v_bfe_u32 v5, v1, 16, 1
	v_add3_u32 v5, v1, v5, s9
	v_and_b32_e32 v5, 0xffff0000, v5
	v_cmp_o_f32_e32 vcc, v1, v1
	v_cndmask_b32_e32 v1, v26, v5, vcc
	v_mul_f32_e32 v1, v1, v2
	v_bfe_u32 v2, v1, 16, 1
	v_add3_u32 v2, v1, v2, s9
	v_and_b32_e32 v2, 0xffff0000, v2
	v_cmp_o_f32_e32 vcc, v1, v1
	v_cndmask_b32_e32 v1, v26, v2, vcc
	v_mul_f32_e32 v1, v19, v1
	v_min_f32_e32 v1, 0x43e00000, v1
	v_max_f32_e32 v6, 0xc3e00000, v1
	v_and_b32_e32 v9, 0x7f800000, v6
	v_cmp_ne_u64_e32 vcc, s[12:13], v[9:10]
                                        ; implicit-def: $vgpr1_vgpr2
	s_and_saveexec_b64 s[0:1], vcc
	s_xor_b64 s[16:17], exec, s[0:1]
	s_cbranch_execz .LBB4_67
; %bb.54:                               ;   in Loop: Header=BB4_5 Depth=1
	v_and_b32_e32 v9, 0x7fffffff, v6
	v_cmp_gt_u64_e32 vcc, s[14:15], v[9:10]
	v_and_b32_sdwa v5, v6, s40 dst_sel:DWORD dst_unused:UNUSED_PAD src0_sel:BYTE_3 src1_sel:DWORD
                                        ; implicit-def: $vgpr1_vgpr2
	s_and_saveexec_b64 s[0:1], vcc
	s_xor_b64 s[18:19], exec, s[0:1]
	s_cbranch_execz .LBB4_64
; %bb.55:                               ;   in Loop: Header=BB4_5 Depth=1
	v_mov_b32_e32 v1, 0
	v_cmp_ne_u32_e32 vcc, 0, v6
	v_mov_b32_e32 v2, 0
	s_and_saveexec_b64 s[28:29], vcc
	s_cbranch_execz .LBB4_63
; %bb.56:                               ;   in Loop: Header=BB4_5 Depth=1
	v_and_b32_e32 v9, 0x7fffff, v6
	v_bfe_u32 v6, v6, 23, 8
	v_sub_u32_e64 v1, s41, v6 clamp
	v_cmp_eq_u32_e32 vcc, 0, v6
	v_cndmask_b32_e32 v18, v1, v28, vcc
	v_or_b32_e32 v16, 0x800000, v9
	v_add_u32_e32 v1, 20, v18
	v_lshlrev_b64 v[1:2], v1, -1
	v_cndmask_b32_e32 v9, v16, v9, vcc
	v_add_u32_e32 v16, 19, v18
	v_lshlrev_b64 v[16:17], v16, 1
	v_bfi_b32 v2, v2, 0, 0
	v_bfi_b32 v1, v1, 0, v9
	v_cmp_eq_u64_e64 s[0:1], v[1:2], v[16:17]
	v_lshrrev_b64 v[1:2], v18, v[9:10]
	v_add_u32_e32 v2, 0xffffff88, v6
	v_and_b32_e32 v9, 0x100000, v1
	v_cndmask_b32_e32 v2, v2, v29, vcc
	v_cmp_eq_u64_e32 vcc, 0, v[9:10]
	v_lshrrev_b32_e32 v6, 23, v1
	s_and_b64 vcc, vcc, s[0:1]
	v_add3_u32 v16, v2, v18, v6
	v_subbrev_co_u32_e32 v2, vcc, 0, v1, vcc
	v_add_u32_e32 v17, -1, v16
	v_and_b32_e32 v2, 0xfffff, v2
	v_add_u32_e32 v9, v2, v1
	v_cmp_ne_u32_e32 vcc, 0, v17
                                        ; implicit-def: $vgpr1_vgpr2
                                        ; implicit-def: $vgpr6
	s_and_saveexec_b64 s[0:1], vcc
	s_xor_b64 s[0:1], exec, s[0:1]
; %bb.57:                               ;   in Loop: Header=BB4_5 Depth=1
	v_and_b32_e32 v30, 0x1000000, v9
	v_mov_b32_e32 v31, v10
	v_bfe_u32 v1, v9, 24, 1
	v_cmp_eq_u64_e32 vcc, 0, v[30:31]
	v_lshrrev_b64 v[1:2], v1, v[9:10]
	v_cndmask_b32_e32 v6, v16, v17, vcc
; %bb.58:                               ;   in Loop: Header=BB4_5 Depth=1
	s_andn2_saveexec_b64 s[0:1], s[0:1]
; %bb.59:                               ;   in Loop: Header=BB4_5 Depth=1
	v_mov_b32_e32 v1, v9
	v_bfe_u32 v6, v9, 23, 1
	v_mov_b32_e32 v2, v10
; %bb.60:                               ;   in Loop: Header=BB4_5 Depth=1
	s_or_b64 exec, exec, s[0:1]
	v_lshrrev_b64 v[1:2], 20, v[1:2]
	v_cmp_gt_i32_e32 vcc, 16, v6
	v_cndmask_b32_e32 v17, 0, v2, vcc
	v_cndmask_b32_e32 v16, 7, v1, vcc
	v_cmp_ne_u64_e32 vcc, 0, v[16:17]
	v_cmp_ne_u32_e64 s[0:1], 0, v6
	s_or_b64 s[0:1], s[0:1], vcc
	v_mov_b32_e32 v1, v5
	v_mov_b32_e32 v2, v6
	s_and_saveexec_b64 s[46:47], s[0:1]
	s_xor_b64 s[0:1], exec, s[46:47]
; %bb.61:                               ;   in Loop: Header=BB4_5 Depth=1
	v_min_i32_e32 v1, 15, v6
	v_lshl_or_b32 v1, v1, 3, v5
	v_and_or_b32 v1, v16, 7, v1
; %bb.62:                               ;   in Loop: Header=BB4_5 Depth=1
	s_andn2_saveexec_b64 s[0:1], s[0:1]
	s_or_b64 exec, exec, s[0:1]
.LBB4_63:                               ;   in Loop: Header=BB4_5 Depth=1
	s_or_b64 exec, exec, s[28:29]
                                        ; implicit-def: $vgpr5
.LBB4_64:                               ;   in Loop: Header=BB4_5 Depth=1
	s_andn2_saveexec_b64 s[0:1], s[18:19]
; %bb.65:                               ;   in Loop: Header=BB4_5 Depth=1
	v_or_b32_e32 v1, 0x7e, v5
; %bb.66:                               ;   in Loop: Header=BB4_5 Depth=1
	s_or_b64 exec, exec, s[0:1]
                                        ; implicit-def: $vgpr6
.LBB4_67:                               ;   in Loop: Header=BB4_5 Depth=1
	s_andn2_saveexec_b64 s[0:1], s[16:17]
; %bb.68:                               ;   in Loop: Header=BB4_5 Depth=1
	v_or_b32_sdwa v1, v6, s42 dst_sel:DWORD dst_unused:UNUSED_PAD src0_sel:BYTE_3 src1_sel:DWORD
; %bb.69:                               ;   in Loop: Header=BB4_5 Depth=1
	s_or_b64 exec, exec, s[0:1]
	v_lshlrev_b32_e32 v2, 16, v7
	v_xor_b32_e32 v5, 0x80000000, v2
	v_bfe_u32 v6, v5, 16, 1
	v_add3_u32 v5, v5, v6, s9
	v_and_b32_e32 v5, 0xffff0000, v5
	v_cmp_o_f32_e32 vcc, v2, v2
	v_cndmask_b32_e32 v5, v26, v5, vcc
	v_mul_f32_e32 v6, 0x3fb8aa3b, v5
	v_fma_f32 v9, v5, s37, -v6
	v_rndne_f32_e32 v16, v6
	v_fmac_f32_e32 v9, 0x32a5705f, v5
	v_sub_f32_e32 v6, v6, v16
	v_add_f32_e32 v6, v6, v9
	v_exp_f32_e32 v6, v6
	v_cvt_i32_f32_e32 v9, v16
	v_cmp_ngt_f32_e32 vcc, s38, v5
	v_ldexp_f32 v6, v6, v9
	v_cndmask_b32_e32 v6, 0, v6, vcc
	v_cmp_nlt_f32_e32 vcc, s39, v5
	v_cndmask_b32_e32 v5, v27, v6, vcc
	v_add_f32_e32 v5, 1.0, v5
	v_div_scale_f32 v6, s[0:1], v5, v5, v2
	v_div_scale_f32 v9, vcc, v2, v5, v2
	v_rcp_f32_e32 v16, v6
	v_fma_f32 v17, -v6, v16, 1.0
	v_fmac_f32_e32 v16, v17, v16
	v_mul_f32_e32 v17, v9, v16
	v_fma_f32 v18, -v6, v17, v9
	v_fmac_f32_e32 v17, v18, v16
	v_fma_f32 v6, -v6, v17, v9
	v_div_fmas_f32 v6, v6, v16, v17
	v_lshlrev_b32_e32 v9, 16, v3
	v_div_fixup_f32 v2, v6, v5, v2
	v_bfe_u32 v5, v2, 16, 1
	v_add3_u32 v5, v2, v5, s9
	v_and_b32_e32 v5, 0xffff0000, v5
	v_cmp_o_f32_e32 vcc, v2, v2
	v_cndmask_b32_e32 v2, v26, v5, vcc
	v_mul_f32_e32 v2, v2, v9
	v_bfe_u32 v5, v2, 16, 1
	v_add3_u32 v5, v2, v5, s9
	v_and_b32_e32 v5, 0xffff0000, v5
	v_cmp_o_f32_e32 vcc, v2, v2
	v_cndmask_b32_e32 v2, v26, v5, vcc
	v_mul_f32_e32 v2, v19, v2
	v_min_f32_e32 v2, 0x43e00000, v2
	v_max_f32_e32 v16, 0xc3e00000, v2
	v_and_b32_e32 v9, 0x7f800000, v16
	v_cmp_ne_u64_e32 vcc, s[12:13], v[9:10]
                                        ; implicit-def: $vgpr5_vgpr6
	s_and_saveexec_b64 s[0:1], vcc
	s_xor_b64 s[16:17], exec, s[0:1]
	s_cbranch_execz .LBB4_83
; %bb.70:                               ;   in Loop: Header=BB4_5 Depth=1
	v_and_b32_e32 v9, 0x7fffffff, v16
	v_cmp_gt_u64_e32 vcc, s[14:15], v[9:10]
	v_and_b32_sdwa v2, v16, s40 dst_sel:DWORD dst_unused:UNUSED_PAD src0_sel:BYTE_3 src1_sel:DWORD
                                        ; implicit-def: $vgpr5_vgpr6
	s_and_saveexec_b64 s[0:1], vcc
	s_xor_b64 s[18:19], exec, s[0:1]
	s_cbranch_execz .LBB4_80
; %bb.71:                               ;   in Loop: Header=BB4_5 Depth=1
	v_mov_b32_e32 v5, 0
	v_cmp_ne_u32_e32 vcc, 0, v16
	v_mov_b32_e32 v6, 0
	s_and_saveexec_b64 s[28:29], vcc
	s_cbranch_execz .LBB4_79
; %bb.72:                               ;   in Loop: Header=BB4_5 Depth=1
	v_bfe_u32 v18, v16, 23, 8
	v_sub_u32_e64 v5, s41, v18 clamp
	v_cmp_eq_u32_e32 vcc, 0, v18
	v_and_b32_e32 v9, 0x7fffff, v16
	v_cndmask_b32_e32 v30, v5, v28, vcc
	v_or_b32_e32 v16, 0x800000, v9
	v_add_u32_e32 v5, 20, v30
	v_lshlrev_b64 v[5:6], v5, -1
	v_cndmask_b32_e32 v9, v16, v9, vcc
	v_add_u32_e32 v16, 19, v30
	v_lshlrev_b64 v[16:17], v16, 1
	v_bfi_b32 v6, v6, 0, 0
	v_bfi_b32 v5, v5, 0, v9
	v_cmp_eq_u64_e64 s[0:1], v[5:6], v[16:17]
	v_lshrrev_b64 v[5:6], v30, v[9:10]
	v_add_u32_e32 v6, 0xffffff88, v18
	v_cndmask_b32_e32 v6, v6, v29, vcc
	v_lshrrev_b32_e32 v9, 23, v5
	v_add3_u32 v16, v6, v30, v9
	v_and_b32_e32 v9, 0x100000, v5
	v_cmp_eq_u64_e32 vcc, 0, v[9:10]
	v_add_u32_e32 v17, -1, v16
	s_and_b64 vcc, vcc, s[0:1]
	v_subbrev_co_u32_e32 v6, vcc, 0, v5, vcc
	v_and_b32_e32 v6, 0xfffff, v6
	v_add_u32_e32 v9, v6, v5
	v_cmp_ne_u32_e32 vcc, 0, v17
                                        ; implicit-def: $vgpr5_vgpr6
                                        ; implicit-def: $vgpr18
	s_and_saveexec_b64 s[0:1], vcc
	s_xor_b64 s[0:1], exec, s[0:1]
; %bb.73:                               ;   in Loop: Header=BB4_5 Depth=1
	v_and_b32_e32 v30, 0x1000000, v9
	v_mov_b32_e32 v31, v10
	v_bfe_u32 v5, v9, 24, 1
	v_cmp_eq_u64_e32 vcc, 0, v[30:31]
	v_lshrrev_b64 v[5:6], v5, v[9:10]
	v_cndmask_b32_e32 v18, v16, v17, vcc
; %bb.74:                               ;   in Loop: Header=BB4_5 Depth=1
	s_andn2_saveexec_b64 s[0:1], s[0:1]
; %bb.75:                               ;   in Loop: Header=BB4_5 Depth=1
	v_mov_b32_e32 v5, v9
	v_bfe_u32 v18, v9, 23, 1
	v_mov_b32_e32 v6, v10
; %bb.76:                               ;   in Loop: Header=BB4_5 Depth=1
	s_or_b64 exec, exec, s[0:1]
	v_lshrrev_b64 v[5:6], 20, v[5:6]
	v_cmp_gt_i32_e32 vcc, 16, v18
	v_cndmask_b32_e32 v17, 0, v6, vcc
	v_cndmask_b32_e32 v16, 7, v5, vcc
	v_cmp_ne_u64_e32 vcc, 0, v[16:17]
	v_cmp_ne_u32_e64 s[0:1], 0, v18
	v_mov_b32_e32 v6, v3
	s_or_b64 s[0:1], s[0:1], vcc
	v_mov_b32_e32 v5, v2
	s_and_saveexec_b64 s[46:47], s[0:1]
	s_xor_b64 s[0:1], exec, s[46:47]
; %bb.77:                               ;   in Loop: Header=BB4_5 Depth=1
	v_min_i32_e32 v5, 15, v18
	v_lshl_or_b32 v2, v5, 3, v2
	v_and_or_b32 v5, v16, 7, v2
; %bb.78:                               ;   in Loop: Header=BB4_5 Depth=1
	s_andn2_saveexec_b64 s[0:1], s[0:1]
	s_or_b64 exec, exec, s[0:1]
.LBB4_79:                               ;   in Loop: Header=BB4_5 Depth=1
	s_or_b64 exec, exec, s[28:29]
                                        ; implicit-def: $vgpr2
.LBB4_80:                               ;   in Loop: Header=BB4_5 Depth=1
	s_andn2_saveexec_b64 s[0:1], s[18:19]
; %bb.81:                               ;   in Loop: Header=BB4_5 Depth=1
	v_or_b32_e32 v5, 0x7e, v2
; %bb.82:                               ;   in Loop: Header=BB4_5 Depth=1
	s_or_b64 exec, exec, s[0:1]
                                        ; implicit-def: $vgpr16
.LBB4_83:                               ;   in Loop: Header=BB4_5 Depth=1
	s_andn2_saveexec_b64 s[0:1], s[16:17]
; %bb.84:                               ;   in Loop: Header=BB4_5 Depth=1
	v_or_b32_sdwa v5, v16, s42 dst_sel:DWORD dst_unused:UNUSED_PAD src0_sel:BYTE_3 src1_sel:DWORD
; %bb.85:                               ;   in Loop: Header=BB4_5 Depth=1
	s_or_b64 exec, exec, s[0:1]
	v_and_b32_e32 v2, 0xffff0000, v7
	v_xor_b32_e32 v6, 0x80000000, v2
	v_bfe_u32 v7, v6, 16, 1
	v_add3_u32 v6, v6, v7, s9
	v_and_b32_e32 v6, 0xffff0000, v6
	v_cmp_o_f32_e32 vcc, v2, v2
	v_cndmask_b32_e32 v6, v26, v6, vcc
	v_mul_f32_e32 v7, 0x3fb8aa3b, v6
	v_fma_f32 v9, v6, s37, -v7
	v_rndne_f32_e32 v16, v7
	v_fmac_f32_e32 v9, 0x32a5705f, v6
	v_sub_f32_e32 v7, v7, v16
	v_add_f32_e32 v7, v7, v9
	v_exp_f32_e32 v7, v7
	v_cvt_i32_f32_e32 v9, v16
	v_cmp_ngt_f32_e32 vcc, s38, v6
	v_and_b32_e32 v3, 0xffff0000, v3
	v_ldexp_f32 v7, v7, v9
	v_cndmask_b32_e32 v7, 0, v7, vcc
	v_cmp_nlt_f32_e32 vcc, s39, v6
	v_cndmask_b32_e32 v6, v27, v7, vcc
	v_add_f32_e32 v6, 1.0, v6
	v_div_scale_f32 v7, s[0:1], v6, v6, v2
	v_div_scale_f32 v9, vcc, v2, v6, v2
	v_rcp_f32_e32 v16, v7
	v_fma_f32 v17, -v7, v16, 1.0
	v_fmac_f32_e32 v16, v17, v16
	v_mul_f32_e32 v17, v9, v16
	v_fma_f32 v18, -v7, v17, v9
	v_fmac_f32_e32 v17, v18, v16
	v_fma_f32 v7, -v7, v17, v9
	v_div_fmas_f32 v7, v7, v16, v17
	v_div_fixup_f32 v2, v7, v6, v2
	v_bfe_u32 v6, v2, 16, 1
	v_add3_u32 v6, v2, v6, s9
	v_and_b32_e32 v6, 0xffff0000, v6
	v_cmp_o_f32_e32 vcc, v2, v2
	v_cndmask_b32_e32 v2, v26, v6, vcc
	v_mul_f32_e32 v2, v2, v3
	v_bfe_u32 v3, v2, 16, 1
	v_add3_u32 v3, v2, v3, s9
	v_and_b32_e32 v3, 0xffff0000, v3
	v_cmp_o_f32_e32 vcc, v2, v2
	v_cndmask_b32_e32 v2, v26, v3, vcc
	v_mul_f32_e32 v2, v19, v2
	v_min_f32_e32 v2, 0x43e00000, v2
	v_max_f32_e32 v7, 0xc3e00000, v2
	v_and_b32_e32 v9, 0x7f800000, v7
	v_cmp_ne_u64_e32 vcc, s[12:13], v[9:10]
                                        ; implicit-def: $vgpr2_vgpr3
	s_and_saveexec_b64 s[0:1], vcc
	s_xor_b64 s[16:17], exec, s[0:1]
	s_cbranch_execz .LBB4_99
; %bb.86:                               ;   in Loop: Header=BB4_5 Depth=1
	v_and_b32_e32 v9, 0x7fffffff, v7
	v_cmp_gt_u64_e32 vcc, s[14:15], v[9:10]
	v_and_b32_sdwa v6, v7, s40 dst_sel:DWORD dst_unused:UNUSED_PAD src0_sel:BYTE_3 src1_sel:DWORD
                                        ; implicit-def: $vgpr2_vgpr3
	s_and_saveexec_b64 s[0:1], vcc
	s_xor_b64 s[18:19], exec, s[0:1]
	s_cbranch_execz .LBB4_96
; %bb.87:                               ;   in Loop: Header=BB4_5 Depth=1
	v_mov_b32_e32 v2, 0
	v_cmp_ne_u32_e32 vcc, 0, v7
	v_mov_b32_e32 v3, 0
	s_and_saveexec_b64 s[28:29], vcc
	s_cbranch_execz .LBB4_95
; %bb.88:                               ;   in Loop: Header=BB4_5 Depth=1
	v_and_b32_e32 v9, 0x7fffff, v7
	v_bfe_u32 v7, v7, 23, 8
	v_sub_u32_e64 v2, s41, v7 clamp
	v_cmp_eq_u32_e32 vcc, 0, v7
	v_cndmask_b32_e32 v18, v2, v28, vcc
	v_or_b32_e32 v16, 0x800000, v9
	v_add_u32_e32 v2, 20, v18
	v_lshlrev_b64 v[2:3], v2, -1
	v_cndmask_b32_e32 v9, v16, v9, vcc
	v_add_u32_e32 v16, 19, v18
	v_lshlrev_b64 v[16:17], v16, 1
	v_bfi_b32 v3, v3, 0, 0
	v_bfi_b32 v2, v2, 0, v9
	v_cmp_eq_u64_e64 s[0:1], v[2:3], v[16:17]
	v_lshrrev_b64 v[2:3], v18, v[9:10]
	v_add_u32_e32 v3, 0xffffff88, v7
	v_and_b32_e32 v9, 0x100000, v2
	v_cndmask_b32_e32 v3, v3, v29, vcc
	v_cmp_eq_u64_e32 vcc, 0, v[9:10]
	v_lshrrev_b32_e32 v7, 23, v2
	s_and_b64 vcc, vcc, s[0:1]
	v_add3_u32 v16, v3, v18, v7
	v_subbrev_co_u32_e32 v3, vcc, 0, v2, vcc
	v_add_u32_e32 v17, -1, v16
	v_and_b32_e32 v3, 0xfffff, v3
	v_add_u32_e32 v9, v3, v2
	v_cmp_ne_u32_e32 vcc, 0, v17
                                        ; implicit-def: $vgpr2_vgpr3
                                        ; implicit-def: $vgpr7
	s_and_saveexec_b64 s[0:1], vcc
	s_xor_b64 s[0:1], exec, s[0:1]
; %bb.89:                               ;   in Loop: Header=BB4_5 Depth=1
	v_and_b32_e32 v30, 0x1000000, v9
	v_mov_b32_e32 v31, v10
	v_bfe_u32 v2, v9, 24, 1
	v_cmp_eq_u64_e32 vcc, 0, v[30:31]
	v_lshrrev_b64 v[2:3], v2, v[9:10]
	v_cndmask_b32_e32 v7, v16, v17, vcc
; %bb.90:                               ;   in Loop: Header=BB4_5 Depth=1
	s_andn2_saveexec_b64 s[0:1], s[0:1]
; %bb.91:                               ;   in Loop: Header=BB4_5 Depth=1
	v_mov_b32_e32 v2, v9
	v_bfe_u32 v7, v9, 23, 1
	v_mov_b32_e32 v3, v10
; %bb.92:                               ;   in Loop: Header=BB4_5 Depth=1
	s_or_b64 exec, exec, s[0:1]
	v_lshrrev_b64 v[2:3], 20, v[2:3]
	v_cmp_gt_i32_e32 vcc, 16, v7
	v_cndmask_b32_e32 v17, 0, v3, vcc
	v_cndmask_b32_e32 v16, 7, v2, vcc
	v_cmp_ne_u64_e32 vcc, 0, v[16:17]
	v_cmp_ne_u32_e64 s[0:1], 0, v7
	s_or_b64 s[0:1], s[0:1], vcc
	v_mov_b32_e32 v2, v6
	v_mov_b32_e32 v3, v7
	s_and_saveexec_b64 s[46:47], s[0:1]
	s_xor_b64 s[0:1], exec, s[46:47]
; %bb.93:                               ;   in Loop: Header=BB4_5 Depth=1
	v_min_i32_e32 v2, 15, v7
	v_lshl_or_b32 v2, v2, 3, v6
	v_and_or_b32 v2, v16, 7, v2
; %bb.94:                               ;   in Loop: Header=BB4_5 Depth=1
	s_andn2_saveexec_b64 s[0:1], s[0:1]
	s_or_b64 exec, exec, s[0:1]
.LBB4_95:                               ;   in Loop: Header=BB4_5 Depth=1
	s_or_b64 exec, exec, s[28:29]
                                        ; implicit-def: $vgpr6
.LBB4_96:                               ;   in Loop: Header=BB4_5 Depth=1
	s_andn2_saveexec_b64 s[0:1], s[18:19]
; %bb.97:                               ;   in Loop: Header=BB4_5 Depth=1
	v_or_b32_e32 v2, 0x7e, v6
; %bb.98:                               ;   in Loop: Header=BB4_5 Depth=1
	s_or_b64 exec, exec, s[0:1]
                                        ; implicit-def: $vgpr7
.LBB4_99:                               ;   in Loop: Header=BB4_5 Depth=1
	s_andn2_saveexec_b64 s[0:1], s[16:17]
; %bb.100:                              ;   in Loop: Header=BB4_5 Depth=1
	v_or_b32_sdwa v2, v7, s42 dst_sel:DWORD dst_unused:UNUSED_PAD src0_sel:BYTE_3 src1_sel:DWORD
; %bb.101:                              ;   in Loop: Header=BB4_5 Depth=1
	s_or_b64 exec, exec, s[0:1]
	v_lshlrev_b32_e32 v3, 16, v8
	v_xor_b32_e32 v6, 0x80000000, v3
	v_bfe_u32 v7, v6, 16, 1
	v_add3_u32 v6, v6, v7, s9
	v_and_b32_e32 v6, 0xffff0000, v6
	v_cmp_o_f32_e32 vcc, v3, v3
	v_cndmask_b32_e32 v6, v26, v6, vcc
	v_mul_f32_e32 v7, 0x3fb8aa3b, v6
	v_fma_f32 v9, v6, s37, -v7
	v_rndne_f32_e32 v16, v7
	v_fmac_f32_e32 v9, 0x32a5705f, v6
	v_sub_f32_e32 v7, v7, v16
	v_add_f32_e32 v7, v7, v9
	v_exp_f32_e32 v7, v7
	v_cvt_i32_f32_e32 v9, v16
	v_cmp_ngt_f32_e32 vcc, s38, v6
	v_ldexp_f32 v7, v7, v9
	v_cndmask_b32_e32 v7, 0, v7, vcc
	v_cmp_nlt_f32_e32 vcc, s39, v6
	v_cndmask_b32_e32 v6, v27, v7, vcc
	v_add_f32_e32 v6, 1.0, v6
	v_div_scale_f32 v7, s[0:1], v6, v6, v3
	v_div_scale_f32 v9, vcc, v3, v6, v3
	v_rcp_f32_e32 v16, v7
	v_fma_f32 v17, -v7, v16, 1.0
	v_fmac_f32_e32 v16, v17, v16
	v_mul_f32_e32 v17, v9, v16
	v_fma_f32 v18, -v7, v17, v9
	v_fmac_f32_e32 v17, v18, v16
	v_fma_f32 v7, -v7, v17, v9
	v_div_fmas_f32 v7, v7, v16, v17
	v_lshlrev_b32_e32 v9, 16, v4
	v_div_fixup_f32 v3, v7, v6, v3
	v_bfe_u32 v6, v3, 16, 1
	v_add3_u32 v6, v3, v6, s9
	v_and_b32_e32 v6, 0xffff0000, v6
	v_cmp_o_f32_e32 vcc, v3, v3
	v_cndmask_b32_e32 v3, v26, v6, vcc
	v_mul_f32_e32 v3, v3, v9
	v_bfe_u32 v6, v3, 16, 1
	v_add3_u32 v6, v3, v6, s9
	v_and_b32_e32 v6, 0xffff0000, v6
	v_cmp_o_f32_e32 vcc, v3, v3
	v_cndmask_b32_e32 v3, v26, v6, vcc
	v_mul_f32_e32 v3, v19, v3
	v_min_f32_e32 v3, 0x43e00000, v3
	v_max_f32_e32 v16, 0xc3e00000, v3
	v_and_b32_e32 v9, 0x7f800000, v16
	v_cmp_ne_u64_e32 vcc, s[12:13], v[9:10]
                                        ; implicit-def: $vgpr6_vgpr7
	s_and_saveexec_b64 s[0:1], vcc
	s_xor_b64 s[16:17], exec, s[0:1]
	s_cbranch_execz .LBB4_115
; %bb.102:                              ;   in Loop: Header=BB4_5 Depth=1
	v_and_b32_e32 v9, 0x7fffffff, v16
	v_cmp_gt_u64_e32 vcc, s[14:15], v[9:10]
	v_and_b32_sdwa v3, v16, s40 dst_sel:DWORD dst_unused:UNUSED_PAD src0_sel:BYTE_3 src1_sel:DWORD
                                        ; implicit-def: $vgpr6_vgpr7
	s_and_saveexec_b64 s[0:1], vcc
	s_xor_b64 s[18:19], exec, s[0:1]
	s_cbranch_execz .LBB4_112
; %bb.103:                              ;   in Loop: Header=BB4_5 Depth=1
	v_mov_b32_e32 v6, 0
	v_cmp_ne_u32_e32 vcc, 0, v16
	v_mov_b32_e32 v7, 0
	s_and_saveexec_b64 s[28:29], vcc
	s_cbranch_execz .LBB4_111
; %bb.104:                              ;   in Loop: Header=BB4_5 Depth=1
	v_bfe_u32 v18, v16, 23, 8
	v_sub_u32_e64 v6, s41, v18 clamp
	v_cmp_eq_u32_e32 vcc, 0, v18
	v_and_b32_e32 v9, 0x7fffff, v16
	v_cndmask_b32_e32 v30, v6, v28, vcc
	v_or_b32_e32 v16, 0x800000, v9
	v_add_u32_e32 v6, 20, v30
	v_lshlrev_b64 v[6:7], v6, -1
	v_cndmask_b32_e32 v9, v16, v9, vcc
	v_add_u32_e32 v16, 19, v30
	v_lshlrev_b64 v[16:17], v16, 1
	v_bfi_b32 v7, v7, 0, 0
	v_bfi_b32 v6, v6, 0, v9
	v_cmp_eq_u64_e64 s[0:1], v[6:7], v[16:17]
	v_lshrrev_b64 v[6:7], v30, v[9:10]
	v_add_u32_e32 v7, 0xffffff88, v18
	v_cndmask_b32_e32 v7, v7, v29, vcc
	v_lshrrev_b32_e32 v9, 23, v6
	v_add3_u32 v16, v7, v30, v9
	v_and_b32_e32 v9, 0x100000, v6
	v_cmp_eq_u64_e32 vcc, 0, v[9:10]
	v_add_u32_e32 v17, -1, v16
	s_and_b64 vcc, vcc, s[0:1]
	v_subbrev_co_u32_e32 v7, vcc, 0, v6, vcc
	v_and_b32_e32 v7, 0xfffff, v7
	v_add_u32_e32 v9, v7, v6
	v_cmp_ne_u32_e32 vcc, 0, v17
                                        ; implicit-def: $vgpr6_vgpr7
                                        ; implicit-def: $vgpr18
	s_and_saveexec_b64 s[0:1], vcc
	s_xor_b64 s[0:1], exec, s[0:1]
; %bb.105:                              ;   in Loop: Header=BB4_5 Depth=1
	v_and_b32_e32 v30, 0x1000000, v9
	v_mov_b32_e32 v31, v10
	v_bfe_u32 v6, v9, 24, 1
	v_cmp_eq_u64_e32 vcc, 0, v[30:31]
	v_lshrrev_b64 v[6:7], v6, v[9:10]
	v_cndmask_b32_e32 v18, v16, v17, vcc
; %bb.106:                              ;   in Loop: Header=BB4_5 Depth=1
	s_andn2_saveexec_b64 s[0:1], s[0:1]
; %bb.107:                              ;   in Loop: Header=BB4_5 Depth=1
	v_mov_b32_e32 v6, v9
	v_bfe_u32 v18, v9, 23, 1
	v_mov_b32_e32 v7, v10
; %bb.108:                              ;   in Loop: Header=BB4_5 Depth=1
	s_or_b64 exec, exec, s[0:1]
	v_lshrrev_b64 v[6:7], 20, v[6:7]
	v_cmp_gt_i32_e32 vcc, 16, v18
	v_cndmask_b32_e32 v17, 0, v7, vcc
	v_cndmask_b32_e32 v16, 7, v6, vcc
	v_cmp_ne_u64_e32 vcc, 0, v[16:17]
	v_cmp_ne_u32_e64 s[0:1], 0, v18
	v_mov_b32_e32 v7, v4
	s_or_b64 s[0:1], s[0:1], vcc
	v_mov_b32_e32 v6, v3
	s_and_saveexec_b64 s[46:47], s[0:1]
	s_xor_b64 s[0:1], exec, s[46:47]
; %bb.109:                              ;   in Loop: Header=BB4_5 Depth=1
	v_min_i32_e32 v6, 15, v18
	v_lshl_or_b32 v3, v6, 3, v3
	v_and_or_b32 v6, v16, 7, v3
; %bb.110:                              ;   in Loop: Header=BB4_5 Depth=1
	s_andn2_saveexec_b64 s[0:1], s[0:1]
	s_or_b64 exec, exec, s[0:1]
.LBB4_111:                              ;   in Loop: Header=BB4_5 Depth=1
	s_or_b64 exec, exec, s[28:29]
                                        ; implicit-def: $vgpr3
.LBB4_112:                              ;   in Loop: Header=BB4_5 Depth=1
	s_andn2_saveexec_b64 s[0:1], s[18:19]
; %bb.113:                              ;   in Loop: Header=BB4_5 Depth=1
	v_or_b32_e32 v6, 0x7e, v3
; %bb.114:                              ;   in Loop: Header=BB4_5 Depth=1
	s_or_b64 exec, exec, s[0:1]
                                        ; implicit-def: $vgpr16
.LBB4_115:                              ;   in Loop: Header=BB4_5 Depth=1
	s_andn2_saveexec_b64 s[0:1], s[16:17]
; %bb.116:                              ;   in Loop: Header=BB4_5 Depth=1
	v_or_b32_sdwa v6, v16, s42 dst_sel:DWORD dst_unused:UNUSED_PAD src0_sel:BYTE_3 src1_sel:DWORD
; %bb.117:                              ;   in Loop: Header=BB4_5 Depth=1
	s_or_b64 exec, exec, s[0:1]
	v_and_b32_e32 v3, 0xffff0000, v8
	v_xor_b32_e32 v7, 0x80000000, v3
	v_bfe_u32 v8, v7, 16, 1
	v_add3_u32 v7, v7, v8, s9
	v_and_b32_e32 v7, 0xffff0000, v7
	v_cmp_o_f32_e32 vcc, v3, v3
	v_cndmask_b32_e32 v7, v26, v7, vcc
	v_mul_f32_e32 v8, 0x3fb8aa3b, v7
	v_fma_f32 v9, v7, s37, -v8
	v_rndne_f32_e32 v16, v8
	v_fmac_f32_e32 v9, 0x32a5705f, v7
	v_sub_f32_e32 v8, v8, v16
	v_add_f32_e32 v8, v8, v9
	v_exp_f32_e32 v8, v8
	v_cvt_i32_f32_e32 v9, v16
	v_cmp_ngt_f32_e32 vcc, s38, v7
	v_and_b32_e32 v4, 0xffff0000, v4
	v_ldexp_f32 v8, v8, v9
	v_cndmask_b32_e32 v8, 0, v8, vcc
	v_cmp_nlt_f32_e32 vcc, s39, v7
	v_cndmask_b32_e32 v7, v27, v8, vcc
	v_add_f32_e32 v7, 1.0, v7
	v_div_scale_f32 v8, s[0:1], v7, v7, v3
	v_div_scale_f32 v9, vcc, v3, v7, v3
	v_rcp_f32_e32 v16, v8
	v_fma_f32 v17, -v8, v16, 1.0
	v_fmac_f32_e32 v16, v17, v16
	v_mul_f32_e32 v17, v9, v16
	v_fma_f32 v18, -v8, v17, v9
	v_fmac_f32_e32 v17, v18, v16
	v_fma_f32 v8, -v8, v17, v9
	v_div_fmas_f32 v8, v8, v16, v17
	v_div_fixup_f32 v3, v8, v7, v3
	v_bfe_u32 v7, v3, 16, 1
	v_add3_u32 v7, v3, v7, s9
	v_and_b32_e32 v7, 0xffff0000, v7
	v_cmp_o_f32_e32 vcc, v3, v3
	v_cndmask_b32_e32 v3, v26, v7, vcc
	v_mul_f32_e32 v3, v3, v4
	v_bfe_u32 v4, v3, 16, 1
	v_add3_u32 v4, v3, v4, s9
	v_and_b32_e32 v4, 0xffff0000, v4
	v_cmp_o_f32_e32 vcc, v3, v3
	v_cndmask_b32_e32 v3, v26, v4, vcc
	v_mul_f32_e32 v3, v19, v3
	v_min_f32_e32 v3, 0x43e00000, v3
	v_max_f32_e32 v4, 0xc3e00000, v3
	v_and_b32_e32 v9, 0x7f800000, v4
	v_cmp_ne_u64_e32 vcc, s[12:13], v[9:10]
                                        ; implicit-def: $vgpr7_vgpr8
	s_and_saveexec_b64 s[0:1], vcc
	s_xor_b64 s[16:17], exec, s[0:1]
	s_cbranch_execz .LBB4_131
; %bb.118:                              ;   in Loop: Header=BB4_5 Depth=1
	v_and_b32_e32 v9, 0x7fffffff, v4
	v_cmp_gt_u64_e32 vcc, s[14:15], v[9:10]
	v_and_b32_sdwa v3, v4, s40 dst_sel:DWORD dst_unused:UNUSED_PAD src0_sel:BYTE_3 src1_sel:DWORD
                                        ; implicit-def: $vgpr7_vgpr8
	s_and_saveexec_b64 s[0:1], vcc
	s_xor_b64 s[18:19], exec, s[0:1]
	s_cbranch_execz .LBB4_128
; %bb.119:                              ;   in Loop: Header=BB4_5 Depth=1
	v_mov_b32_e32 v7, 0
	v_cmp_ne_u32_e32 vcc, 0, v4
	v_mov_b32_e32 v8, 0
	s_and_saveexec_b64 s[28:29], vcc
	s_cbranch_execz .LBB4_127
; %bb.120:                              ;   in Loop: Header=BB4_5 Depth=1
	v_and_b32_e32 v9, 0x7fffff, v4
	v_bfe_u32 v4, v4, 23, 8
	v_sub_u32_e64 v7, s41, v4 clamp
	v_cmp_eq_u32_e32 vcc, 0, v4
	v_cndmask_b32_e32 v18, v7, v28, vcc
	v_or_b32_e32 v16, 0x800000, v9
	v_add_u32_e32 v7, 20, v18
	v_lshlrev_b64 v[7:8], v7, -1
	v_cndmask_b32_e32 v9, v16, v9, vcc
	v_add_u32_e32 v16, 19, v18
	v_lshlrev_b64 v[16:17], v16, 1
	v_bfi_b32 v8, v8, 0, 0
	v_bfi_b32 v7, v7, 0, v9
	v_cmp_eq_u64_e64 s[0:1], v[7:8], v[16:17]
	v_lshrrev_b64 v[7:8], v18, v[9:10]
	v_add_u32_e32 v4, 0xffffff88, v4
	v_and_b32_e32 v9, 0x100000, v7
	v_cndmask_b32_e32 v4, v4, v29, vcc
	v_cmp_eq_u64_e32 vcc, 0, v[9:10]
	v_lshrrev_b32_e32 v8, 23, v7
	s_and_b64 vcc, vcc, s[0:1]
	v_add3_u32 v16, v4, v18, v8
	v_subbrev_co_u32_e32 v4, vcc, 0, v7, vcc
	v_add_u32_e32 v17, -1, v16
	v_and_b32_e32 v4, 0xfffff, v4
	v_add_u32_e32 v9, v4, v7
	v_cmp_ne_u32_e32 vcc, 0, v17
                                        ; implicit-def: $vgpr7_vgpr8
                                        ; implicit-def: $vgpr4
	s_and_saveexec_b64 s[0:1], vcc
	s_xor_b64 s[0:1], exec, s[0:1]
; %bb.121:                              ;   in Loop: Header=BB4_5 Depth=1
	v_and_b32_e32 v30, 0x1000000, v9
	v_mov_b32_e32 v31, v10
	v_bfe_u32 v4, v9, 24, 1
	v_cmp_eq_u64_e32 vcc, 0, v[30:31]
	v_lshrrev_b64 v[7:8], v4, v[9:10]
	v_cndmask_b32_e32 v4, v16, v17, vcc
; %bb.122:                              ;   in Loop: Header=BB4_5 Depth=1
	s_andn2_saveexec_b64 s[0:1], s[0:1]
; %bb.123:                              ;   in Loop: Header=BB4_5 Depth=1
	v_mov_b32_e32 v7, v9
	v_bfe_u32 v4, v9, 23, 1
	v_mov_b32_e32 v8, v10
; %bb.124:                              ;   in Loop: Header=BB4_5 Depth=1
	s_or_b64 exec, exec, s[0:1]
	v_lshrrev_b64 v[7:8], 20, v[7:8]
	v_cmp_gt_i32_e32 vcc, 16, v4
	v_cndmask_b32_e32 v17, 0, v8, vcc
	v_cndmask_b32_e32 v16, 7, v7, vcc
	v_cmp_ne_u64_e32 vcc, 0, v[16:17]
	v_cmp_ne_u32_e64 s[0:1], 0, v4
	v_mov_b32_e32 v8, v4
	s_or_b64 s[0:1], s[0:1], vcc
	v_mov_b32_e32 v7, v3
	s_and_saveexec_b64 s[46:47], s[0:1]
	s_xor_b64 s[0:1], exec, s[46:47]
; %bb.125:                              ;   in Loop: Header=BB4_5 Depth=1
	v_min_i32_e32 v4, 15, v4
	v_lshl_or_b32 v3, v4, 3, v3
	v_and_or_b32 v7, v16, 7, v3
; %bb.126:                              ;   in Loop: Header=BB4_5 Depth=1
	s_andn2_saveexec_b64 s[0:1], s[0:1]
	s_or_b64 exec, exec, s[0:1]
.LBB4_127:                              ;   in Loop: Header=BB4_5 Depth=1
	s_or_b64 exec, exec, s[28:29]
                                        ; implicit-def: $vgpr3
.LBB4_128:                              ;   in Loop: Header=BB4_5 Depth=1
	s_andn2_saveexec_b64 s[0:1], s[18:19]
; %bb.129:                              ;   in Loop: Header=BB4_5 Depth=1
	v_or_b32_e32 v7, 0x7e, v3
; %bb.130:                              ;   in Loop: Header=BB4_5 Depth=1
	s_or_b64 exec, exec, s[0:1]
                                        ; implicit-def: $vgpr4
.LBB4_131:                              ;   in Loop: Header=BB4_5 Depth=1
	s_andn2_saveexec_b64 s[0:1], s[16:17]
	s_cbranch_execz .LBB4_4
; %bb.132:                              ;   in Loop: Header=BB4_5 Depth=1
	v_or_b32_sdwa v7, v4, s42 dst_sel:DWORD dst_unused:UNUSED_PAD src0_sel:BYTE_3 src1_sel:DWORD
	s_branch .LBB4_4
.LBB4_133:
	s_or_b64 exec, exec, s[4:5]
	s_sub_i32 s0, 8, s25
	s_cmp_gt_i32 s24, s0
	s_cbranch_scc0 .LBB4_162
; %bb.134:
	v_add_u32_e32 v0, s0, v0
	v_cmp_gt_i32_e32 vcc, s24, v0
	s_and_saveexec_b64 s[0:1], vcc
	s_cbranch_execz .LBB4_162
; %bb.135:
	v_mov_b32_e32 v1, 0
	s_load_dword s0, s[2:3], 0xc
	s_mov_b32 s25, 0
	v_add_u32_e32 v2, 1, v0
	v_mov_b32_e32 v3, v1
	v_cmp_lt_u64_e32 vcc, s[24:25], v[2:3]
	v_mov_b32_e32 v4, s24
	v_cndmask_b32_e32 v2, v4, v2, vcc
	v_sub_co_u32_e32 v2, vcc, v2, v0
	s_waitcnt lgkmcnt(0)
	s_and_b32 s42, s0, 0xffff
	v_subb_co_u32_e64 v3, s[0:1], 0, 0, vcc
	v_cmp_gt_u64_e32 vcc, 2, v[2:3]
	s_cmp_lg_u32 s42, 1
	s_cselect_b64 s[0:1], -1, 0
	s_or_b64 s[4:5], vcc, s[0:1]
	s_mov_b64 s[28:29], 0
	v_mov_b32_e32 v5, v3
                                        ; implicit-def: $sgpr2_sgpr3
                                        ; implicit-def: $sgpr0_sgpr1
	s_and_saveexec_b64 s[8:9], s[4:5]
	s_xor_b64 s[4:5], exec, s[8:9]
	s_cbranch_execz .LBB4_137
; %bb.136:
	s_lshl_b64 s[0:1], s[6:7], 2
	s_or_b32 s0, s0, 2
	s_mul_i32 s2, s0, s34
	s_mul_hi_u32 s3, s0, s33
	s_add_i32 s2, s3, s2
	s_mul_i32 s1, s1, s33
	s_mov_b64 s[28:29], exec
	s_add_i32 s3, s2, s1
	s_mul_i32 s2, s0, s33
	s_lshl_b64 s[0:1], s[26:27], 2
                                        ; implicit-def: $vgpr2_vgpr3
                                        ; implicit-def: $vgpr5
.LBB4_137:
	s_or_saveexec_b64 s[30:31], s[4:5]
	v_mov_b32_e32 v7, s3
	v_mov_b32_e32 v9, s1
	;; [unrolled: 1-line block ×4, first 2 shown]
	s_xor_b64 exec, exec, s[30:31]
	s_cbranch_execz .LBB4_141
; %bb.138:
	s_add_u32 s0, s20, s26
	s_addc_u32 s1, s21, s27
	v_mov_b32_e32 v7, s1
	v_add_co_u32_e32 v6, vcc, s0, v0
	s_lshl_b64 s[0:1], s[6:7], 2
	s_or_b32 s0, s0, 2
	s_mul_i32 s2, s0, s34
	s_mul_hi_u32 s3, s0, s33
	s_add_i32 s2, s3, s2
	s_mul_i32 s1, s1, s33
	s_add_i32 s35, s2, s1
	s_mul_i32 s34, s0, s33
	v_lshlrev_b64 v[10:11], 1, v[0:1]
	s_add_u32 s0, s22, s34
	v_addc_co_u32_e32 v7, vcc, 0, v7, vcc
	s_addc_u32 s1, s23, s35
	s_lshl_b64 s[36:37], s[26:27], 2
	v_mov_b32_e32 v1, s1
	v_add_co_u32_e32 v8, vcc, s0, v10
	s_add_u32 s0, s22, s36
	v_addc_co_u32_e32 v9, vcc, v1, v11, vcc
	s_addc_u32 s1, s23, s37
	v_and_b32_e32 v4, -2, v2
	v_mov_b32_e32 v1, s1
	v_add_co_u32_e32 v10, vcc, s0, v10
	v_mov_b32_e32 v15, v5
	v_addc_co_u32_e32 v11, vcc, v1, v11, vcc
	s_mov_b64 s[38:39], 0
	s_movk_i32 s33, 0x7fff
	v_mov_b32_e32 v1, 0x7fc00000
	s_mov_b32 s43, 0x3fb8aa3b
	s_mov_b32 s44, 0xc2ce8ed0
	;; [unrolled: 1-line block ×4, first 2 shown]
	v_mov_b32_e32 v18, 0x7f800000
	s_movk_i32 s47, 0x80
	s_mov_b32 s48, 0x43e00001
	s_movk_i32 s49, 0x79
	v_mov_b32_e32 v20, 0x78
	v_mov_b32_e32 v13, 0
	s_movk_i32 s50, 0xff88
	v_mov_b32_e32 v21, 0xffffff89
	s_movk_i32 s51, 0x7f
	v_mov_b32_e32 v22, 1
	v_mov_b32_e32 v14, v4
.LBB4_139:                              ; =>This Inner Loop Header: Depth=1
	global_load_dword v12, v[10:11], off
	s_waitcnt vmcnt(0)
	v_lshlrev_b32_e32 v16, 16, v12
	v_xor_b32_e32 v17, 0x80000000, v16
	v_and_b32_sdwa v23, v17, v22 dst_sel:DWORD dst_unused:UNUSED_PAD src0_sel:WORD_1 src1_sel:DWORD
	v_add3_u32 v17, v17, v23, s33
	v_cmp_o_f32_e32 vcc, v16, v16
	v_and_b32_e32 v17, 0xffff0000, v17
	v_cndmask_b32_e32 v17, v1, v17, vcc
	v_mul_f32_e32 v23, 0x3fb8aa3b, v17
	v_fma_f32 v24, v17, s43, -v23
	v_cmp_ngt_f32_e32 vcc, s44, v17
	v_cmp_nlt_f32_e64 s[0:1], s45, v17
	v_fmac_f32_e32 v24, 0x32a5705f, v17
	v_rndne_f32_e32 v17, v23
	v_sub_f32_e32 v23, v23, v17
	v_add_f32_e32 v23, v23, v24
	v_cvt_i32_f32_e32 v17, v17
	v_exp_f32_e32 v23, v23
	v_and_b32_e32 v12, 0xffff0000, v12
	v_ldexp_f32 v17, v23, v17
	v_cndmask_b32_e32 v17, 0, v17, vcc
	v_cndmask_b32_e64 v17, v18, v17, s[0:1]
	v_add_f32_e32 v17, 1.0, v17
	v_div_scale_f32 v23, s[0:1], v17, v17, v16
	v_rcp_f32_e32 v24, v23
	v_fma_f32 v25, -v23, v24, 1.0
	v_fmac_f32_e32 v24, v25, v24
	v_div_scale_f32 v25, vcc, v16, v17, v16
	v_mul_f32_e32 v26, v25, v24
	v_fma_f32 v27, -v23, v26, v25
	v_fmac_f32_e32 v26, v27, v24
	v_fma_f32 v23, -v23, v26, v25
	v_div_fmas_f32 v23, v23, v24, v26
	global_load_dword v24, v[8:9], off
	v_div_fixup_f32 v16, v23, v17, v16
	v_and_b32_sdwa v23, v16, v22 dst_sel:DWORD dst_unused:UNUSED_PAD src0_sel:WORD_1 src1_sel:DWORD
	v_cmp_o_f32_e32 vcc, v16, v16
	v_add3_u32 v16, v16, v23, s33
	v_and_b32_e32 v16, 0xffff0000, v16
	v_cndmask_b32_e32 v16, v1, v16, vcc
	s_waitcnt vmcnt(0)
	v_lshlrev_b32_e32 v17, 16, v24
	v_mul_f32_e32 v16, v16, v17
	v_and_b32_sdwa v17, v16, v22 dst_sel:DWORD dst_unused:UNUSED_PAD src0_sel:WORD_1 src1_sel:DWORD
	v_cmp_o_f32_e32 vcc, v16, v16
	v_add3_u32 v16, v16, v17, s33
	v_and_b32_e32 v16, 0xffff0000, v16
	v_cndmask_b32_e32 v16, v1, v16, vcc
	v_mul_f32_e32 v16, v19, v16
	v_min_f32_e32 v16, 0x43e00000, v16
	v_max_f32_e32 v23, 0xc3e00000, v16
	v_lshrrev_b32_e32 v28, 23, v23
	v_sub_u32_sdwa v16, s49, v28 clamp dst_sel:DWORD dst_unused:UNUSED_PAD src0_sel:DWORD src1_sel:BYTE_0
	v_cmp_eq_u32_sdwa s[4:5], v28, v13 src0_sel:BYTE_0 src1_sel:DWORD
	v_cndmask_b32_e64 v25, v16, v20, s[4:5]
	v_and_b32_e32 v16, 0x7fffff, v23
	v_or_b32_e32 v17, 0x800000, v16
	v_cndmask_b32_e64 v16, v17, v16, s[4:5]
	v_add_u32_e32 v17, 20, v25
	v_lshlrev_b64 v[26:27], v17, -1
	v_add_u32_e32 v17, 19, v25
	v_lshlrev_b64 v[29:30], v17, 1
	v_bfi_b32 v27, v27, 0, 0
	v_bfi_b32 v26, v26, 0, v16
	v_xor_b32_e32 v17, 0x80000000, v12
	v_cmp_eq_u64_e64 s[0:1], v[26:27], v[29:30]
	v_and_b32_sdwa v26, v17, v22 dst_sel:DWORD dst_unused:UNUSED_PAD src0_sel:WORD_1 src1_sel:DWORD
	v_add3_u32 v17, v17, v26, s33
	v_cmp_o_f32_e32 vcc, v12, v12
	v_and_b32_e32 v17, 0xffff0000, v17
	v_cndmask_b32_e32 v17, v1, v17, vcc
	v_mul_f32_e32 v26, 0x3fb8aa3b, v17
	v_fma_f32 v27, v17, s43, -v26
	v_cmp_ngt_f32_e32 vcc, s44, v17
	v_cmp_nlt_f32_e64 s[2:3], s45, v17
	v_fmac_f32_e32 v27, 0x32a5705f, v17
	v_rndne_f32_e32 v17, v26
	v_sub_f32_e32 v26, v26, v17
	v_add_f32_e32 v26, v26, v27
	v_cvt_i32_f32_e32 v17, v17
	v_exp_f32_e32 v26, v26
	v_add_u32_sdwa v28, v28, s50 dst_sel:DWORD dst_unused:UNUSED_PAD src0_sel:BYTE_0 src1_sel:DWORD
	v_cndmask_b32_e64 v28, v28, v21, s[4:5]
	v_cmp_ne_u32_e64 s[16:17], 0, v23
	v_ldexp_f32 v17, v26, v17
	v_cndmask_b32_e32 v17, 0, v17, vcc
	v_cndmask_b32_e64 v17, v18, v17, s[2:3]
	v_add_f32_e32 v17, 1.0, v17
	v_div_scale_f32 v26, s[2:3], v17, v17, v12
	v_rcp_f32_e32 v27, v26
	v_fma_f32 v29, -v26, v27, 1.0
	v_fmac_f32_e32 v27, v29, v27
	v_div_scale_f32 v29, vcc, v12, v17, v12
	v_mul_f32_e32 v30, v29, v27
	v_fma_f32 v31, -v26, v30, v29
	v_fmac_f32_e32 v30, v31, v27
	v_fma_f32 v26, -v26, v30, v29
	v_div_fmas_f32 v26, v26, v27, v30
	v_div_fixup_f32 v12, v26, v17, v12
	v_and_b32_sdwa v17, v12, v22 dst_sel:DWORD dst_unused:UNUSED_PAD src0_sel:WORD_1 src1_sel:DWORD
	v_cmp_o_f32_e32 vcc, v12, v12
	v_add3_u32 v12, v12, v17, s33
	v_and_b32_e32 v12, 0xffff0000, v12
	v_and_b32_e32 v17, 0xffff0000, v24
	v_cndmask_b32_e32 v12, v1, v12, vcc
	v_mul_f32_e32 v12, v12, v17
	v_and_b32_sdwa v17, v12, v22 dst_sel:DWORD dst_unused:UNUSED_PAD src0_sel:WORD_1 src1_sel:DWORD
	v_cmp_o_f32_e32 vcc, v12, v12
	v_add3_u32 v12, v12, v17, s33
	v_and_b32_e32 v12, 0xffff0000, v12
	v_cndmask_b32_e32 v12, v1, v12, vcc
	v_mul_f32_e32 v12, v19, v12
	v_min_f32_e32 v12, 0x43e00000, v12
	v_max_f32_e32 v24, 0xc3e00000, v12
	v_lshrrev_b32_e32 v26, 23, v24
	v_and_b32_e32 v12, 0x7fffff, v24
	v_cmp_eq_u32_sdwa vcc, v26, v13 src0_sel:BYTE_0 src1_sel:DWORD
	v_or_b32_e32 v17, 0x800000, v12
	v_cndmask_b32_e32 v12, v17, v12, vcc
	v_sub_u32_sdwa v17, s49, v26 clamp dst_sel:DWORD dst_unused:UNUSED_PAD src0_sel:DWORD src1_sel:BYTE_0
	v_cndmask_b32_e32 v27, v17, v20, vcc
	v_add_u32_e32 v17, 20, v27
	v_lshlrev_b64 v[29:30], v17, -1
	v_add_u32_e32 v17, 19, v27
	v_lshlrev_b64 v[31:32], v17, 1
	v_mov_b32_e32 v17, v13
	v_bfi_b32 v30, v30, 0, 0
	v_bfi_b32 v29, v29, 0, v12
	v_lshrrev_b64 v[16:17], v25, v[16:17]
	v_cmp_eq_u64_e64 s[2:3], v[29:30], v[31:32]
	v_lshrrev_b64 v[30:31], v27, v[12:13]
	v_lshrrev_b32_e32 v17, 23, v16
	v_add3_u32 v25, v28, v25, v17
	v_mov_b32_e32 v29, v13
	v_and_b32_e32 v28, 0x100000, v30
	v_cmp_eq_u64_e64 s[4:5], 0, v[28:29]
	v_and_b32_e32 v12, 0x100000, v16
	s_and_b64 s[2:3], s[4:5], s[2:3]
	v_cmp_eq_u64_e64 s[6:7], 0, v[12:13]
	v_subbrev_co_u32_e64 v12, s[2:3], 0, v30, s[2:3]
	v_and_b32_e32 v12, 0xfffff, v12
	v_add_u32_sdwa v26, v26, s50 dst_sel:DWORD dst_unused:UNUSED_PAD src0_sel:BYTE_0 src1_sel:DWORD
	v_add_u32_e32 v12, v12, v30
	v_lshrrev_b32_e32 v17, 23, v30
	v_cndmask_b32_e32 v26, v26, v21, vcc
	v_add3_u32 v17, v26, v27, v17
	v_mov_b32_e32 v27, v13
	v_and_b32_e32 v26, 0x1000000, v12
	s_and_b64 s[0:1], s[6:7], s[0:1]
	v_cmp_eq_u64_e32 vcc, 0, v[26:27]
	v_subbrev_co_u32_e64 v26, s[0:1], 0, v16, s[0:1]
	v_and_b32_e32 v26, 0xfffff, v26
	v_add_u32_e32 v16, v26, v16
	v_and_b32_e32 v26, 0x1000000, v16
	v_cmp_eq_u64_e64 s[4:5], 0, v[26:27]
	v_and_b32_e32 v26, 0x7fffffff, v24
	v_cmp_gt_u32_e64 s[0:1], s48, v26
	v_add_u32_e32 v26, -1, v17
	v_cmp_ne_u32_e64 s[2:3], 0, v24
	v_cmp_eq_u32_e64 s[6:7], 0, v26
	v_cndmask_b32_e32 v17, v17, v26, vcc
	s_and_b64 s[8:9], s[0:1], s[2:3]
	v_lshrrev_b32_e32 v26, 23, v12
	s_and_b64 vcc, s[8:9], s[6:7]
	v_and_b32_e32 v26, 1, v26
	v_cndmask_b32_e32 v28, v17, v26, vcc
	v_bfe_u32 v17, v12, 24, 1
	v_cndmask_b32_e64 v17, v17, 0, vcc
	v_lshrrev_b64 v[26:27], v17, v[12:13]
	v_cmp_gt_i32_e32 vcc, 16, v28
	v_lshrrev_b32_e32 v12, 20, v26
	v_cndmask_b32_e32 v29, 7, v12, vcc
	v_min_i32_e32 v12, 15, v28
	v_lshlrev_b32_e32 v12, 3, v12
	v_and_b32_sdwa v27, v24, s47 dst_sel:DWORD dst_unused:UNUSED_PAD src0_sel:BYTE_3 src1_sel:DWORD
	v_or_b32_e32 v12, v12, v27
	v_and_or_b32 v26, v29, 7, v12
	v_and_b32_e32 v12, 0x7f800000, v23
	v_mov_b32_e32 v30, v13
	v_cmp_ne_u32_e64 s[12:13], s46, v12
	v_and_b32_e32 v12, 0x7fffffff, v23
	v_cmp_eq_u64_e32 vcc, 0, v[29:30]
	v_cmp_gt_u32_e64 s[14:15], s48, v12
	v_and_b32_e32 v12, 0x7f800000, v24
	v_and_b32_sdwa v29, v23, s47 dst_sel:DWORD dst_unused:UNUSED_PAD src0_sel:BYTE_3 src1_sel:DWORD
	v_cmp_ne_u32_e64 s[10:11], s46, v12
	v_or_b32_sdwa v12, v23, s51 dst_sel:DWORD dst_unused:UNUSED_PAD src0_sel:BYTE_3 src1_sel:DWORD
	v_or_b32_e32 v17, 0x7e, v29
	v_cmp_eq_u32_e64 s[6:7], 0, v23
	v_cndmask_b32_e64 v23, v12, v17, s[12:13]
	v_or_b32_sdwa v12, v24, s51 dst_sel:DWORD dst_unused:UNUSED_PAD src0_sel:BYTE_3 src1_sel:DWORD
	v_or_b32_e32 v17, 0x7e, v27
	v_cmp_eq_u32_e64 s[8:9], 0, v24
	v_cndmask_b32_e64 v24, v12, v17, s[10:11]
	v_add_u32_e32 v12, -1, v25
	s_and_b64 s[40:41], s[14:15], s[16:17]
	v_cmp_eq_u32_e64 s[18:19], 0, v12
	s_and_b64 s[18:19], s[40:41], s[18:19]
	v_bfe_u32 v30, v16, 24, 1
	v_mov_b32_e32 v17, v13
	v_cndmask_b32_e64 v30, v30, 0, s[18:19]
	v_lshrrev_b32_e32 v31, 23, v16
	v_lshrrev_b64 v[16:17], v30, v[16:17]
	v_cndmask_b32_e64 v12, v25, v12, s[4:5]
	v_and_b32_e32 v17, 1, v31
	v_cndmask_b32_e64 v17, v12, v17, s[18:19]
	v_lshrrev_b32_e32 v12, 20, v16
	v_cmp_gt_i32_e64 s[18:19], 16, v17
	v_cndmask_b32_e64 v12, 7, v12, s[18:19]
	s_and_b64 s[18:19], s[12:13], s[14:15]
	s_and_b64 s[12:13], s[18:19], s[6:7]
	v_cmp_eq_u32_e64 s[4:5], 0, v28
	v_cndmask_b32_e64 v16, v23, 0, s[12:13]
	v_cmp_eq_u32_e64 s[12:13], 0, v17
	v_min_i32_e32 v17, 15, v17
	v_cmp_eq_u64_e64 s[14:15], 0, v[12:13]
	s_and_b64 s[0:1], s[10:11], s[0:1]
	v_lshlrev_b32_e32 v17, 3, v17
	s_and_b64 s[2:3], s[0:1], s[2:3]
	s_and_b64 s[10:11], s[0:1], s[8:9]
	s_and_b64 s[4:5], s[4:5], vcc
	s_and_b64 s[16:17], s[18:19], s[16:17]
	v_or_b32_e32 v17, v17, v29
	s_and_b64 s[40:41], s[12:13], s[14:15]
	v_cndmask_b32_e64 v23, v24, 0, s[10:11]
	s_nor_b64 s[8:9], s[8:9], s[4:5]
	s_and_b64 vcc, s[2:3], s[4:5]
	s_and_b64 s[12:13], s[16:17], s[40:41]
	v_and_or_b32 v12, v12, 7, v17
	s_nor_b64 s[6:7], s[6:7], s[40:41]
	v_cndmask_b32_e32 v17, v23, v27, vcc
	s_and_b64 vcc, s[0:1], s[8:9]
	v_cndmask_b32_e64 v16, v16, v29, s[12:13]
	v_add_co_u32_e64 v14, s[12:13], -2, v14
	v_add_co_u32_e64 v8, s[14:15], 4, v8
	v_add_co_u32_e64 v10, s[16:17], 4, v10
	s_and_b64 s[0:1], s[18:19], s[6:7]
	v_cndmask_b32_e32 v17, v17, v26, vcc
	v_addc_co_u32_e64 v15, s[12:13], -1, v15, s[12:13]
	v_addc_co_u32_e64 v9, s[12:13], 0, v9, s[14:15]
	v_addc_co_u32_e64 v11, s[12:13], 0, v11, s[16:17]
	v_cndmask_b32_e64 v12, v16, v12, s[0:1]
	v_lshlrev_b16_e32 v16, 8, v17
	v_cmp_eq_u64_e64 s[12:13], 0, v[14:15]
	v_or_b32_sdwa v12, v12, v16 dst_sel:DWORD dst_unused:UNUSED_PAD src0_sel:BYTE_0 src1_sel:DWORD
	global_store_short v[6:7], v12, off
	v_add_co_u32_e32 v6, vcc, 2, v6
	s_or_b64 s[38:39], s[12:13], s[38:39]
	v_addc_co_u32_e32 v7, vcc, 0, v7, vcc
	s_andn2_b64 exec, exec, s[38:39]
	s_cbranch_execnz .LBB4_139
; %bb.140:
	s_or_b64 exec, exec, s[38:39]
	v_add_co_u32_e32 v0, vcc, v4, v0
	v_addc_co_u32_e32 v1, vcc, 0, v5, vcc
	v_cmp_ne_u64_e32 vcc, v[2:3], v[4:5]
	v_mov_b32_e32 v6, s34
	v_mov_b32_e32 v8, s36
	s_andn2_b64 s[0:1], s[28:29], exec
	s_and_b64 s[2:3], vcc, exec
	v_mov_b32_e32 v7, s35
	v_mov_b32_e32 v9, s37
	s_or_b64 s[28:29], s[0:1], s[2:3]
.LBB4_141:
	s_or_b64 exec, exec, s[30:31]
	s_and_b64 exec, exec, s[28:29]
	s_cbranch_execz .LBB4_162
; %bb.142:
	v_lshlrev_b64 v[2:3], 1, v[0:1]
	s_add_u32 s14, s20, s26
	v_mov_b32_e32 v4, s23
	v_add_co_u32_e32 v10, vcc, s22, v2
	s_addc_u32 s15, s21, s27
	v_addc_co_u32_e32 v11, vcc, v4, v3, vcc
	s_lshl_b32 s16, s42, 1
	s_mov_b64 s[2:3], 0
	s_movk_i32 s17, 0x7fff
	v_mov_b32_e32 v12, 0x7fc00000
	s_mov_b32 s18, 0x3fb8aa3b
	s_mov_b32 s19, 0xc2ce8ed0
	s_mov_b32 s20, 0x42b17218
	v_mov_b32_e32 v13, 0x7f800000
	v_mov_b32_e32 v3, 0
	s_mov_b64 s[4:5], 0x7f800000
	s_movk_i32 s21, 0x80
	s_mov_b64 s[6:7], 0x43e00001
	s_movk_i32 s22, 0x79
	s_movk_i32 s23, 0x7f
	v_mov_b32_e32 v14, 0x78
	v_mov_b32_e32 v15, 0xffffff89
	s_branch .LBB4_144
.LBB4_143:                              ;   in Loop: Header=BB4_144 Depth=1
	s_or_b64 exec, exec, s[0:1]
	v_mov_b32_e32 v5, s15
	v_add_co_u32_e32 v4, vcc, s14, v0
	v_addc_co_u32_e32 v5, vcc, v5, v1, vcc
	v_add_co_u32_e32 v0, vcc, s42, v0
	v_addc_co_u32_e32 v1, vcc, 0, v1, vcc
	v_cmp_le_u64_e32 vcc, s[24:25], v[0:1]
	global_store_byte v[4:5], v2, off
	s_or_b64 s[2:3], vcc, s[2:3]
	v_add_co_u32_e32 v10, vcc, s16, v10
	v_addc_co_u32_e32 v11, vcc, 0, v11, vcc
	s_andn2_b64 exec, exec, s[2:3]
	s_cbranch_execz .LBB4_162
.LBB4_144:                              ; =>This Inner Loop Header: Depth=1
	v_add_co_u32_e32 v4, vcc, v10, v8
	v_addc_co_u32_e32 v5, vcc, v11, v9, vcc
	global_load_ushort v2, v[4:5], off
	v_add_co_u32_e32 v4, vcc, v10, v6
	v_addc_co_u32_e32 v5, vcc, v11, v7, vcc
	global_load_ushort v4, v[4:5], off
	s_waitcnt vmcnt(1)
	v_lshlrev_b32_e32 v2, 16, v2
	v_xor_b32_e32 v5, 0x80000000, v2
	v_bfe_u32 v16, v5, 16, 1
	v_add3_u32 v5, v5, v16, s17
	v_and_b32_e32 v5, 0xffff0000, v5
	v_cmp_o_f32_e32 vcc, v2, v2
	v_cndmask_b32_e32 v5, v12, v5, vcc
	v_mul_f32_e32 v16, 0x3fb8aa3b, v5
	v_fma_f32 v17, v5, s18, -v16
	v_rndne_f32_e32 v18, v16
	v_fmac_f32_e32 v17, 0x32a5705f, v5
	v_sub_f32_e32 v16, v16, v18
	v_add_f32_e32 v16, v16, v17
	v_cvt_i32_f32_e32 v18, v18
	v_exp_f32_e32 v16, v16
	v_cmp_ngt_f32_e32 vcc, s19, v5
	s_waitcnt vmcnt(0)
	v_lshlrev_b32_e32 v4, 16, v4
	v_ldexp_f32 v16, v16, v18
	v_cndmask_b32_e32 v16, 0, v16, vcc
	v_cmp_nlt_f32_e32 vcc, s20, v5
	v_cndmask_b32_e32 v5, v13, v16, vcc
	v_add_f32_e32 v5, 1.0, v5
	v_div_scale_f32 v16, s[0:1], v5, v5, v2
	v_div_scale_f32 v17, vcc, v2, v5, v2
	v_rcp_f32_e32 v18, v16
	v_fma_f32 v20, -v16, v18, 1.0
	v_fmac_f32_e32 v18, v20, v18
	v_mul_f32_e32 v20, v17, v18
	v_fma_f32 v21, -v16, v20, v17
	v_fmac_f32_e32 v20, v21, v18
	v_fma_f32 v16, -v16, v20, v17
	v_div_fmas_f32 v16, v16, v18, v20
	v_div_fixup_f32 v2, v16, v5, v2
	v_bfe_u32 v5, v2, 16, 1
	v_add3_u32 v5, v2, v5, s17
	v_and_b32_e32 v5, 0xffff0000, v5
	v_cmp_o_f32_e32 vcc, v2, v2
	v_cndmask_b32_e32 v2, v12, v5, vcc
	v_mul_f32_e32 v2, v2, v4
	v_bfe_u32 v4, v2, 16, 1
	v_add3_u32 v4, v2, v4, s17
	v_and_b32_e32 v4, 0xffff0000, v4
	v_cmp_o_f32_e32 vcc, v2, v2
	v_cndmask_b32_e32 v2, v12, v4, vcc
	v_mul_f32_e32 v2, v19, v2
	v_min_f32_e32 v2, 0x43e00000, v2
	v_max_f32_e32 v4, 0xc3e00000, v2
	v_and_b32_e32 v2, 0x7f800000, v4
	v_cmp_ne_u64_e32 vcc, s[4:5], v[2:3]
                                        ; implicit-def: $vgpr2
	s_and_saveexec_b64 s[0:1], vcc
	s_xor_b64 s[8:9], exec, s[0:1]
	s_cbranch_execz .LBB4_160
; %bb.145:                              ;   in Loop: Header=BB4_144 Depth=1
	v_and_b32_e32 v2, 0x7fffffff, v4
	v_cmp_gt_u64_e32 vcc, s[6:7], v[2:3]
	v_and_b32_sdwa v16, v4, s21 dst_sel:DWORD dst_unused:UNUSED_PAD src0_sel:BYTE_3 src1_sel:DWORD
                                        ; implicit-def: $vgpr2
	s_and_saveexec_b64 s[0:1], vcc
	s_xor_b64 s[10:11], exec, s[0:1]
	s_cbranch_execz .LBB4_157
; %bb.146:                              ;   in Loop: Header=BB4_144 Depth=1
	v_cmp_ne_u32_e32 vcc, 0, v4
	v_mov_b32_e32 v2, 0
	s_and_saveexec_b64 s[12:13], vcc
	s_cbranch_execz .LBB4_156
; %bb.147:                              ;   in Loop: Header=BB4_144 Depth=1
	v_bfe_u32 v20, v4, 23, 8
	v_and_b32_e32 v2, 0x7fffff, v4
	v_sub_u32_e64 v4, s22, v20 clamp
	v_cmp_eq_u32_e32 vcc, 0, v20
	v_cndmask_b32_e32 v21, v4, v14, vcc
	v_or_b32_e32 v17, 0x800000, v2
	v_add_u32_e32 v4, 20, v21
	v_lshlrev_b64 v[4:5], v4, -1
	v_cndmask_b32_e32 v2, v17, v2, vcc
	v_add_u32_e32 v17, 19, v21
	v_lshlrev_b64 v[17:18], v17, 1
	v_bfi_b32 v5, v5, 0, 0
	v_bfi_b32 v4, v4, 0, v2
	v_cmp_eq_u64_e64 s[0:1], v[4:5], v[17:18]
	v_lshrrev_b64 v[4:5], v21, v[2:3]
	v_add_u32_e32 v2, 0xffffff88, v20
	v_cndmask_b32_e32 v2, v2, v15, vcc
	v_lshrrev_b32_e32 v5, 23, v4
	v_add3_u32 v18, v2, v21, v5
	v_and_b32_e32 v2, 0x100000, v4
	v_cmp_eq_u64_e32 vcc, 0, v[2:3]
	v_add_u32_e32 v20, -1, v18
	s_and_b64 vcc, vcc, s[0:1]
	v_subbrev_co_u32_e32 v2, vcc, 0, v4, vcc
	v_and_b32_e32 v2, 0xfffff, v2
	v_add_u32_e32 v2, v2, v4
	v_cmp_ne_u32_e32 vcc, 0, v20
                                        ; implicit-def: $vgpr4_vgpr5
                                        ; implicit-def: $vgpr17
	s_and_saveexec_b64 s[0:1], vcc
	s_xor_b64 s[0:1], exec, s[0:1]
; %bb.148:                              ;   in Loop: Header=BB4_144 Depth=1
	v_and_b32_e32 v21, 0x1000000, v2
	v_mov_b32_e32 v22, v3
	v_cmp_eq_u64_e32 vcc, 0, v[21:22]
	v_bfe_u32 v4, v2, 24, 1
	v_lshrrev_b64 v[4:5], v4, v[2:3]
	v_cndmask_b32_e32 v17, v18, v20, vcc
; %bb.149:                              ;   in Loop: Header=BB4_144 Depth=1
	s_andn2_saveexec_b64 s[0:1], s[0:1]
; %bb.150:                              ;   in Loop: Header=BB4_144 Depth=1
	v_mov_b32_e32 v5, v3
	v_bfe_u32 v17, v2, 23, 1
	v_mov_b32_e32 v4, v2
; %bb.151:                              ;   in Loop: Header=BB4_144 Depth=1
	s_or_b64 exec, exec, s[0:1]
	v_lshrrev_b64 v[4:5], 20, v[4:5]
	v_cmp_gt_i32_e32 vcc, 16, v17
	v_cndmask_b32_e32 v5, 0, v5, vcc
	v_cndmask_b32_e32 v4, 7, v4, vcc
	v_cmp_ne_u64_e32 vcc, 0, v[4:5]
	v_cmp_ne_u32_e64 s[0:1], 0, v17
	s_or_b64 s[0:1], s[0:1], vcc
                                        ; implicit-def: $vgpr2
	s_and_saveexec_b64 s[26:27], s[0:1]
	s_xor_b64 s[0:1], exec, s[26:27]
; %bb.152:                              ;   in Loop: Header=BB4_144 Depth=1
	v_min_i32_e32 v2, 15, v17
	v_lshl_or_b32 v2, v2, 3, v16
	v_and_or_b32 v2, v4, 7, v2
                                        ; implicit-def: $vgpr16
; %bb.153:                              ;   in Loop: Header=BB4_144 Depth=1
	s_andn2_saveexec_b64 s[0:1], s[0:1]
; %bb.154:                              ;   in Loop: Header=BB4_144 Depth=1
	v_mov_b32_e32 v2, v16
; %bb.155:                              ;   in Loop: Header=BB4_144 Depth=1
	s_or_b64 exec, exec, s[0:1]
.LBB4_156:                              ;   in Loop: Header=BB4_144 Depth=1
	s_or_b64 exec, exec, s[12:13]
                                        ; implicit-def: $vgpr16
.LBB4_157:                              ;   in Loop: Header=BB4_144 Depth=1
	s_andn2_saveexec_b64 s[0:1], s[10:11]
; %bb.158:                              ;   in Loop: Header=BB4_144 Depth=1
	v_or_b32_e32 v2, 0x7e, v16
; %bb.159:                              ;   in Loop: Header=BB4_144 Depth=1
	s_or_b64 exec, exec, s[0:1]
                                        ; implicit-def: $vgpr4
.LBB4_160:                              ;   in Loop: Header=BB4_144 Depth=1
	s_andn2_saveexec_b64 s[0:1], s[8:9]
	s_cbranch_execz .LBB4_143
; %bb.161:                              ;   in Loop: Header=BB4_144 Depth=1
	v_or_b32_sdwa v2, v4, s23 dst_sel:DWORD dst_unused:UNUSED_PAD src0_sel:BYTE_3 src1_sel:DWORD
	s_branch .LBB4_143
.LBB4_162:
	s_endpgm
	.section	.rodata,"a",@progbits
	.p2align	6, 0x0
	.amdhsa_kernel _ZN4vllm24act_and_mul_quant_kernelIN3c108BFloat16ETnPFT_RKS3_EXadL_ZNS_11silu_kernelIS2_EES3_S5_EENS1_13Float8_e4m3fnEEEvPT1_PS4_PKfi
		.amdhsa_group_segment_fixed_size 0
		.amdhsa_private_segment_fixed_size 0
		.amdhsa_kernarg_size 288
		.amdhsa_user_sgpr_count 6
		.amdhsa_user_sgpr_private_segment_buffer 1
		.amdhsa_user_sgpr_dispatch_ptr 0
		.amdhsa_user_sgpr_queue_ptr 0
		.amdhsa_user_sgpr_kernarg_segment_ptr 1
		.amdhsa_user_sgpr_dispatch_id 0
		.amdhsa_user_sgpr_flat_scratch_init 0
		.amdhsa_user_sgpr_private_segment_size 0
		.amdhsa_uses_dynamic_stack 0
		.amdhsa_system_sgpr_private_segment_wavefront_offset 0
		.amdhsa_system_sgpr_workgroup_id_x 1
		.amdhsa_system_sgpr_workgroup_id_y 1
		.amdhsa_system_sgpr_workgroup_id_z 0
		.amdhsa_system_sgpr_workgroup_info 0
		.amdhsa_system_vgpr_workitem_id 0
		.amdhsa_next_free_vgpr 33
		.amdhsa_next_free_sgpr 52
		.amdhsa_reserve_vcc 1
		.amdhsa_reserve_flat_scratch 0
		.amdhsa_float_round_mode_32 0
		.amdhsa_float_round_mode_16_64 0
		.amdhsa_float_denorm_mode_32 3
		.amdhsa_float_denorm_mode_16_64 3
		.amdhsa_dx10_clamp 1
		.amdhsa_ieee_mode 1
		.amdhsa_fp16_overflow 0
		.amdhsa_exception_fp_ieee_invalid_op 0
		.amdhsa_exception_fp_denorm_src 0
		.amdhsa_exception_fp_ieee_div_zero 0
		.amdhsa_exception_fp_ieee_overflow 0
		.amdhsa_exception_fp_ieee_underflow 0
		.amdhsa_exception_fp_ieee_inexact 0
		.amdhsa_exception_int_div_zero 0
	.end_amdhsa_kernel
	.section	.text._ZN4vllm24act_and_mul_quant_kernelIN3c108BFloat16ETnPFT_RKS3_EXadL_ZNS_11silu_kernelIS2_EES3_S5_EENS1_13Float8_e4m3fnEEEvPT1_PS4_PKfi,"axG",@progbits,_ZN4vllm24act_and_mul_quant_kernelIN3c108BFloat16ETnPFT_RKS3_EXadL_ZNS_11silu_kernelIS2_EES3_S5_EENS1_13Float8_e4m3fnEEEvPT1_PS4_PKfi,comdat
.Lfunc_end4:
	.size	_ZN4vllm24act_and_mul_quant_kernelIN3c108BFloat16ETnPFT_RKS3_EXadL_ZNS_11silu_kernelIS2_EES3_S5_EENS1_13Float8_e4m3fnEEEvPT1_PS4_PKfi, .Lfunc_end4-_ZN4vllm24act_and_mul_quant_kernelIN3c108BFloat16ETnPFT_RKS3_EXadL_ZNS_11silu_kernelIS2_EES3_S5_EENS1_13Float8_e4m3fnEEEvPT1_PS4_PKfi
                                        ; -- End function
	.set _ZN4vllm24act_and_mul_quant_kernelIN3c108BFloat16ETnPFT_RKS3_EXadL_ZNS_11silu_kernelIS2_EES3_S5_EENS1_13Float8_e4m3fnEEEvPT1_PS4_PKfi.num_vgpr, 33
	.set _ZN4vllm24act_and_mul_quant_kernelIN3c108BFloat16ETnPFT_RKS3_EXadL_ZNS_11silu_kernelIS2_EES3_S5_EENS1_13Float8_e4m3fnEEEvPT1_PS4_PKfi.num_agpr, 0
	.set _ZN4vllm24act_and_mul_quant_kernelIN3c108BFloat16ETnPFT_RKS3_EXadL_ZNS_11silu_kernelIS2_EES3_S5_EENS1_13Float8_e4m3fnEEEvPT1_PS4_PKfi.numbered_sgpr, 52
	.set _ZN4vllm24act_and_mul_quant_kernelIN3c108BFloat16ETnPFT_RKS3_EXadL_ZNS_11silu_kernelIS2_EES3_S5_EENS1_13Float8_e4m3fnEEEvPT1_PS4_PKfi.num_named_barrier, 0
	.set _ZN4vllm24act_and_mul_quant_kernelIN3c108BFloat16ETnPFT_RKS3_EXadL_ZNS_11silu_kernelIS2_EES3_S5_EENS1_13Float8_e4m3fnEEEvPT1_PS4_PKfi.private_seg_size, 0
	.set _ZN4vllm24act_and_mul_quant_kernelIN3c108BFloat16ETnPFT_RKS3_EXadL_ZNS_11silu_kernelIS2_EES3_S5_EENS1_13Float8_e4m3fnEEEvPT1_PS4_PKfi.uses_vcc, 1
	.set _ZN4vllm24act_and_mul_quant_kernelIN3c108BFloat16ETnPFT_RKS3_EXadL_ZNS_11silu_kernelIS2_EES3_S5_EENS1_13Float8_e4m3fnEEEvPT1_PS4_PKfi.uses_flat_scratch, 0
	.set _ZN4vllm24act_and_mul_quant_kernelIN3c108BFloat16ETnPFT_RKS3_EXadL_ZNS_11silu_kernelIS2_EES3_S5_EENS1_13Float8_e4m3fnEEEvPT1_PS4_PKfi.has_dyn_sized_stack, 0
	.set _ZN4vllm24act_and_mul_quant_kernelIN3c108BFloat16ETnPFT_RKS3_EXadL_ZNS_11silu_kernelIS2_EES3_S5_EENS1_13Float8_e4m3fnEEEvPT1_PS4_PKfi.has_recursion, 0
	.set _ZN4vllm24act_and_mul_quant_kernelIN3c108BFloat16ETnPFT_RKS3_EXadL_ZNS_11silu_kernelIS2_EES3_S5_EENS1_13Float8_e4m3fnEEEvPT1_PS4_PKfi.has_indirect_call, 0
	.section	.AMDGPU.csdata,"",@progbits
; Kernel info:
; codeLenInByte = 9516
; TotalNumSgprs: 56
; NumVgprs: 33
; ScratchSize: 0
; MemoryBound: 0
; FloatMode: 240
; IeeeMode: 1
; LDSByteSize: 0 bytes/workgroup (compile time only)
; SGPRBlocks: 6
; VGPRBlocks: 8
; NumSGPRsForWavesPerEU: 56
; NumVGPRsForWavesPerEU: 33
; Occupancy: 7
; WaveLimiterHint : 0
; COMPUTE_PGM_RSRC2:SCRATCH_EN: 0
; COMPUTE_PGM_RSRC2:USER_SGPR: 6
; COMPUTE_PGM_RSRC2:TRAP_HANDLER: 0
; COMPUTE_PGM_RSRC2:TGID_X_EN: 1
; COMPUTE_PGM_RSRC2:TGID_Y_EN: 1
; COMPUTE_PGM_RSRC2:TGID_Z_EN: 0
; COMPUTE_PGM_RSRC2:TIDIG_COMP_CNT: 0
	.section	.text._ZN4vllm24act_and_mul_quant_kernelIN3c108BFloat16ETnPFT_RKS3_EXadL_ZNS_11silu_kernelIS2_EES3_S5_EENS1_15Float8_e4m3fnuzEEEvPT1_PS4_PKfi,"axG",@progbits,_ZN4vllm24act_and_mul_quant_kernelIN3c108BFloat16ETnPFT_RKS3_EXadL_ZNS_11silu_kernelIS2_EES3_S5_EENS1_15Float8_e4m3fnuzEEEvPT1_PS4_PKfi,comdat
	.protected	_ZN4vllm24act_and_mul_quant_kernelIN3c108BFloat16ETnPFT_RKS3_EXadL_ZNS_11silu_kernelIS2_EES3_S5_EENS1_15Float8_e4m3fnuzEEEvPT1_PS4_PKfi ; -- Begin function _ZN4vllm24act_and_mul_quant_kernelIN3c108BFloat16ETnPFT_RKS3_EXadL_ZNS_11silu_kernelIS2_EES3_S5_EENS1_15Float8_e4m3fnuzEEEvPT1_PS4_PKfi
	.globl	_ZN4vllm24act_and_mul_quant_kernelIN3c108BFloat16ETnPFT_RKS3_EXadL_ZNS_11silu_kernelIS2_EES3_S5_EENS1_15Float8_e4m3fnuzEEEvPT1_PS4_PKfi
	.p2align	8
	.type	_ZN4vllm24act_and_mul_quant_kernelIN3c108BFloat16ETnPFT_RKS3_EXadL_ZNS_11silu_kernelIS2_EES3_S5_EENS1_15Float8_e4m3fnuzEEEvPT1_PS4_PKfi,@function
_ZN4vllm24act_and_mul_quant_kernelIN3c108BFloat16ETnPFT_RKS3_EXadL_ZNS_11silu_kernelIS2_EES3_S5_EENS1_15Float8_e4m3fnuzEEEvPT1_PS4_PKfi: ; @_ZN4vllm24act_and_mul_quant_kernelIN3c108BFloat16ETnPFT_RKS3_EXadL_ZNS_11silu_kernelIS2_EES3_S5_EENS1_15Float8_e4m3fnuzEEEvPT1_PS4_PKfi
; %bb.0:
	s_load_dword s1, s[4:5], 0x24
	s_add_u32 s2, s4, 32
	s_mov_b32 s0, s7
	s_addc_u32 s3, s5, 0
	s_load_dword s30, s[4:5], 0x18
	s_load_dwordx4 s[16:19], s[4:5], 0x0
	s_waitcnt lgkmcnt(0)
	s_abs_i32 s7, s1
	v_cvt_f32_u32_e32 v1, s7
	s_sub_i32 s9, 0, s7
	s_add_i32 s8, s30, s1
	s_add_i32 s8, s8, -1
	v_rcp_iflag_f32_e32 v1, v1
	s_xor_b32 s1, s8, s1
	s_abs_i32 s8, s8
	s_ashr_i32 s1, s1, 31
	v_mul_f32_e32 v1, 0x4f7ffffe, v1
	v_cvt_u32_f32_e32 v1, v1
	v_readfirstlane_b32 s10, v1
	s_mul_i32 s9, s9, s10
	s_mul_hi_u32 s9, s10, s9
	s_add_i32 s10, s10, s9
	s_mul_hi_u32 s9, s8, s10
	s_mul_i32 s10, s9, s7
	s_sub_i32 s8, s8, s10
	s_add_i32 s10, s9, 1
	s_sub_i32 s11, s8, s7
	s_cmp_ge_u32 s8, s7
	s_cselect_b32 s9, s10, s9
	s_cselect_b32 s8, s11, s8
	s_add_i32 s10, s9, 1
	s_cmp_ge_u32 s8, s7
	s_cselect_b32 s7, s10, s9
	s_xor_b32 s7, s7, s1
	s_sub_i32 s1, s7, s1
	s_and_b32 s7, s1, 7
	s_cmp_eq_u32 s7, 0
	s_mov_b32 s7, 0
	s_cbranch_scc1 .LBB5_2
; %bb.1:
	s_ashr_i32 s8, s1, 31
	s_lshr_b32 s8, s8, 29
	s_add_i32 s1, s1, s8
	s_and_b32 s1, s1, -8
	s_add_i32 s1, s1, 8
.LBB5_2:
	s_load_dwordx2 s[4:5], s[4:5], 0x10
	s_mul_i32 s8, s1, s0
	s_add_i32 s0, s8, s1
	s_min_i32 s20, s0, s30
	s_ashr_i32 s31, s30, 31
	s_waitcnt lgkmcnt(0)
	s_load_dword s4, s[4:5], 0x0
	s_abs_i32 s5, s20
	v_cvt_f32_u32_e32 v1, s5
	s_mul_i32 s22, s30, s6
	s_waitcnt lgkmcnt(0)
	v_div_scale_f32 v2, s[0:1], s4, s4, 1.0
	v_div_scale_f32 v3, vcc, 1.0, s4, 1.0
	v_rcp_iflag_f32_e32 v1, v1
	s_mul_hi_u32 s0, s30, s6
	s_mul_i32 s1, s31, s6
	s_add_i32 s23, s0, s1
	v_mul_f32_e32 v1, 0x4f7ffffe, v1
	v_cvt_u32_f32_e32 v1, v1
	s_sub_i32 s0, 0, s5
	v_readfirstlane_b32 s1, v1
	s_mul_i32 s0, s0, s1
	s_mul_hi_u32 s0, s1, s0
	v_rcp_f32_e32 v1, v2
	s_add_i32 s1, s1, s0
	s_lshr_b32 s0, s1, 29
	s_mul_i32 s0, s0, s5
	v_fma_f32 v4, -v2, v1, 1.0
	v_fmac_f32_e32 v1, v4, v1
	v_mul_f32_e32 v4, v3, v1
	v_fma_f32 v5, -v2, v4, v3
	v_fmac_f32_e32 v4, v5, v1
	v_fma_f32 v2, -v2, v4, v3
	v_div_fmas_f32 v1, v2, v1, v4
	s_sub_i32 s0, 8, s0
	s_sub_i32 s1, s0, s5
	s_cmp_ge_u32 s0, s5
	s_cselect_b32 s0, s1, s0
	s_sub_i32 s1, s0, s5
	s_cmp_ge_u32 s0, s5
	s_cselect_b32 s21, s1, s0
	s_cmp_eq_u32 s21, 0
	s_cselect_b64 s[0:1], -1, 0
	v_cndmask_b32_e64 v21, 0, 1, s[0:1]
	s_ashr_i32 s0, s8, 31
	s_lshr_b32 s0, s0, 29
	s_add_i32 s8, s8, s0
	s_ashr_i32 s0, s8, 3
	v_add_u32_e32 v22, s0, v0
	v_div_fixup_f32 v20, v1, s4, 1.0
	v_cmp_lt_i32_e32 vcc, v22, v21
	s_and_saveexec_b64 s[4:5], vcc
	s_cbranch_execz .LBB5_101
; %bb.3:
	s_load_dword s1, s[2:3], 0xc
	s_ashr_i32 s10, s0, 31
	v_add_co_u32_e32 v1, vcc, s0, v0
	v_mov_b32_e32 v2, s10
	s_waitcnt lgkmcnt(0)
	s_and_b32 s33, s1, 0xffff
	s_lshl_b64 s[0:1], s[6:7], 2
	s_or_b32 s0, s0, 2
	v_addc_co_u32_e32 v2, vcc, 0, v2, vcc
	s_mul_i32 s10, s0, s31
	s_mul_hi_u32 s11, s0, s30
	v_lshlrev_b64 v[3:4], 4, v[1:2]
	s_add_i32 s10, s11, s10
	s_mul_i32 s1, s1, s30
	s_lshl_b64 s[8:9], s[22:23], 2
	s_lshl_b32 s34, s33, 4
	s_add_i32 s1, s10, s1
	v_mov_b32_e32 v5, s19
	v_add_co_u32_e32 v23, vcc, s18, v3
	s_mul_i32 s35, s0, s30
	v_lshlrev_b64 v[1:2], 3, v[1:2]
	s_add_u32 s0, s16, s22
	v_addc_co_u32_e32 v24, vcc, v5, v4, vcc
	s_addc_u32 s10, s17, s23
	v_mov_b32_e32 v3, s10
	v_add_co_u32_e32 v11, vcc, s0, v1
	v_mov_b32_e32 v10, 0
	v_addc_co_u32_e32 v12, vcc, v3, v2, vcc
	s_lshl_b32 s36, s33, 3
	s_mov_b64 s[10:11], 0
	v_mov_b32_e32 v25, s9
	v_mov_b32_e32 v26, s1
	s_movk_i32 s9, 0x7fff
	v_mov_b32_e32 v27, 0x7fc00000
	s_mov_b32 s37, 0x3fb8aa3b
	s_mov_b32 s38, 0xc2ce8ed0
	;; [unrolled: 1-line block ×3, first 2 shown]
	v_mov_b32_e32 v28, 0x7f800000
	s_mov_b64 s[12:13], 0x7f800000
	s_mov_b64 s[14:15], 0x43700001
	s_movk_i32 s40, 0x78
	s_movk_i32 s41, 0x80
	;; [unrolled: 1-line block ×3, first 2 shown]
	s_mov_b32 s43, 0xff00
	s_mov_b32 s44, 0x4020c0c
	v_mov_b32_e32 v29, 0x77
	v_mov_b32_e32 v30, 0xffffff8a
	s_branch .LBB5_6
.LBB5_4:                                ;   in Loop: Header=BB5_6 Depth=1
	s_or_b64 exec, exec, s[0:1]
.LBB5_5:                                ;   in Loop: Header=BB5_6 Depth=1
	s_or_b64 exec, exec, s[24:25]
	v_lshlrev_b32_e32 v3, 16, v6
	v_lshlrev_b32_e32 v2, 24, v2
	v_and_b32_e32 v3, 0xff0000, v3
	v_lshlrev_b32_e32 v1, 8, v1
	v_or_b32_e32 v2, v2, v3
	v_and_b32_e32 v1, 0xff00, v1
	v_and_b32_e32 v3, 0xff, v5
	v_or3_b32 v2, v2, v1, v3
	v_lshlrev_b32_e32 v1, 16, v18
	v_lshlrev_b32_e32 v3, 8, v13
	v_perm_b32 v1, v16, v1, s44
	v_add_co_u32_e32 v23, vcc, s34, v23
	v_and_or_b32 v1, v3, s43, v1
	v_add_u32_e32 v22, s33, v22
	v_addc_co_u32_e32 v24, vcc, 0, v24, vcc
	v_or_b32_sdwa v1, v1, v15 dst_sel:DWORD dst_unused:UNUSED_PAD src0_sel:DWORD src1_sel:BYTE_0
	v_cmp_ge_i32_e32 vcc, v22, v21
	global_store_dwordx2 v[11:12], v[1:2], off
	s_or_b64 s[10:11], vcc, s[10:11]
	v_add_co_u32_e32 v11, vcc, s36, v11
	v_addc_co_u32_e32 v12, vcc, 0, v12, vcc
	s_andn2_b64 exec, exec, s[10:11]
	s_cbranch_execz .LBB5_101
.LBB5_6:                                ; =>This Inner Loop Header: Depth=1
	v_add_co_u32_e32 v1, vcc, s8, v23
	v_addc_co_u32_e32 v2, vcc, v24, v25, vcc
	global_load_dwordx4 v[5:8], v[1:2], off
	v_add_co_u32_e32 v1, vcc, s35, v23
	v_addc_co_u32_e32 v2, vcc, v24, v26, vcc
	global_load_dwordx4 v[1:4], v[1:2], off
	s_waitcnt vmcnt(1)
	v_lshlrev_b32_e32 v9, 16, v5
	v_xor_b32_e32 v13, 0x80000000, v9
	v_bfe_u32 v14, v13, 16, 1
	v_add3_u32 v13, v13, v14, s9
	v_and_b32_e32 v13, 0xffff0000, v13
	v_cmp_o_f32_e32 vcc, v9, v9
	v_cndmask_b32_e32 v13, v27, v13, vcc
	v_mul_f32_e32 v14, 0x3fb8aa3b, v13
	v_fma_f32 v15, v13, s37, -v14
	v_rndne_f32_e32 v16, v14
	v_fmac_f32_e32 v15, 0x32a5705f, v13
	v_sub_f32_e32 v14, v14, v16
	v_add_f32_e32 v14, v14, v15
	v_cvt_i32_f32_e32 v16, v16
	v_exp_f32_e32 v14, v14
	v_cmp_ngt_f32_e32 vcc, s38, v13
	v_ldexp_f32 v14, v14, v16
	v_cndmask_b32_e32 v14, 0, v14, vcc
	v_cmp_nlt_f32_e32 vcc, s39, v13
	v_cndmask_b32_e32 v13, v28, v14, vcc
	v_add_f32_e32 v15, 1.0, v13
	v_div_scale_f32 v13, s[0:1], v15, v15, v9
	v_div_scale_f32 v14, vcc, v9, v15, v9
	v_rcp_f32_e32 v16, v13
	v_fma_f32 v17, -v13, v16, 1.0
	v_fmac_f32_e32 v16, v17, v16
	v_mul_f32_e32 v17, v14, v16
	v_fma_f32 v18, -v13, v17, v14
	v_fmac_f32_e32 v17, v18, v16
	v_fma_f32 v13, -v13, v17, v14
	v_div_fmas_f32 v16, v13, v16, v17
	v_mov_b32_e32 v13, 0x80
	v_mov_b32_e32 v14, 0
	s_waitcnt vmcnt(0)
	v_lshlrev_b32_e32 v14, 16, v1
	v_div_fixup_f32 v9, v16, v15, v9
	v_bfe_u32 v15, v9, 16, 1
	v_add3_u32 v15, v9, v15, s9
	v_and_b32_e32 v15, 0xffff0000, v15
	v_cmp_o_f32_e32 vcc, v9, v9
	v_cndmask_b32_e32 v9, v27, v15, vcc
	v_mul_f32_e32 v9, v9, v14
	v_bfe_u32 v14, v9, 16, 1
	v_add3_u32 v14, v9, v14, s9
	v_and_b32_e32 v14, 0xffff0000, v14
	v_cmp_o_f32_e32 vcc, v9, v9
	v_cndmask_b32_e32 v9, v27, v14, vcc
	v_mul_f32_e32 v9, v20, v9
	v_min_f32_e32 v9, 0x43600000, v9
	v_max_f32_e32 v17, 0xc3600000, v9
	v_and_b32_e32 v9, 0x7f800000, v17
	v_cmp_ne_u64_e32 vcc, s[12:13], v[9:10]
	v_mov_b32_e32 v15, 0x80
	v_mov_b32_e32 v16, 0
	s_and_saveexec_b64 s[24:25], vcc
	s_cbranch_execz .LBB5_18
; %bb.7:                                ;   in Loop: Header=BB5_6 Depth=1
	v_and_b32_e32 v9, 0x7fffffff, v17
	v_cmp_gt_u64_e32 vcc, s[14:15], v[9:10]
                                        ; implicit-def: $vgpr15_vgpr16
	s_and_saveexec_b64 s[0:1], vcc
	s_xor_b64 s[26:27], exec, s[0:1]
	s_cbranch_execz .LBB5_15
; %bb.8:                                ;   in Loop: Header=BB5_6 Depth=1
	v_mov_b32_e32 v15, 0
	v_cmp_ne_u32_e32 vcc, 0, v17
	v_mov_b32_e32 v16, 0
	s_and_saveexec_b64 s[28:29], vcc
	s_cbranch_execz .LBB5_14
; %bb.9:                                ;   in Loop: Header=BB5_6 Depth=1
	v_bfe_u32 v16, v17, 23, 8
	v_sub_u32_e64 v14, s40, v16 clamp
	v_cmp_eq_u32_e32 vcc, 0, v16
	v_and_b32_e32 v9, 0x7fffff, v17
	v_cndmask_b32_e32 v31, v14, v29, vcc
	v_or_b32_e32 v18, 0x800000, v9
	v_add_u32_e32 v14, 20, v31
	v_lshlrev_b64 v[14:15], v14, -1
	v_cndmask_b32_e32 v9, v18, v9, vcc
	v_add_u32_e32 v18, 19, v31
	v_lshlrev_b64 v[18:19], v18, 1
	v_bfi_b32 v15, v15, 0, 0
	v_bfi_b32 v14, v14, 0, v9
	v_cmp_eq_u64_e64 s[0:1], v[14:15], v[18:19]
	v_lshrrev_b64 v[14:15], v31, v[9:10]
	v_add_u32_e32 v9, 0xffffff89, v16
	v_cndmask_b32_e32 v9, v9, v30, vcc
	v_lshrrev_b32_e32 v15, 23, v14
	v_add3_u32 v18, v9, v31, v15
	v_and_b32_e32 v9, 0x100000, v14
	v_cmp_eq_u64_e32 vcc, 0, v[9:10]
	v_add_u32_e32 v19, -1, v18
	s_and_b64 vcc, vcc, s[0:1]
	v_subbrev_co_u32_e32 v9, vcc, 0, v14, vcc
	v_and_b32_e32 v9, 0xfffff, v9
	v_add_u32_e32 v9, v9, v14
	v_cmp_ne_u32_e32 vcc, 0, v19
                                        ; implicit-def: $vgpr14_vgpr15
                                        ; implicit-def: $vgpr16
	s_and_saveexec_b64 s[0:1], vcc
	s_xor_b64 s[0:1], exec, s[0:1]
; %bb.10:                               ;   in Loop: Header=BB5_6 Depth=1
	v_and_b32_e32 v31, 0x1000000, v9
	v_mov_b32_e32 v32, v10
	v_cmp_eq_u64_e32 vcc, 0, v[31:32]
	v_bfe_u32 v14, v9, 24, 1
	v_lshrrev_b64 v[14:15], v14, v[9:10]
	v_cndmask_b32_e32 v16, v18, v19, vcc
; %bb.11:                               ;   in Loop: Header=BB5_6 Depth=1
	s_andn2_saveexec_b64 s[0:1], s[0:1]
; %bb.12:                               ;   in Loop: Header=BB5_6 Depth=1
	v_mov_b32_e32 v15, v10
	v_bfe_u32 v16, v9, 23, 1
	v_mov_b32_e32 v14, v9
; %bb.13:                               ;   in Loop: Header=BB5_6 Depth=1
	s_or_b64 exec, exec, s[0:1]
	v_lshrrev_b64 v[14:15], 20, v[14:15]
	v_cmp_gt_i32_e32 vcc, 16, v16
	v_cndmask_b32_e32 v15, 0, v15, vcc
	v_cndmask_b32_e32 v14, 7, v14, vcc
	v_and_b32_sdwa v9, v17, s41 dst_sel:DWORD dst_unused:UNUSED_PAD src0_sel:BYTE_3 src1_sel:DWORD
	v_min_i32_e32 v17, 15, v16
	v_cmp_eq_u64_e64 s[0:1], 0, v[14:15]
	v_cmp_eq_u32_e32 vcc, 0, v16
	v_lshl_or_b32 v9, v17, 3, v9
	v_and_or_b32 v9, v14, 7, v9
	s_and_b64 s[0:1], vcc, s[0:1]
	v_cndmask_b32_e64 v15, v9, 0, s[0:1]
.LBB5_14:                               ;   in Loop: Header=BB5_6 Depth=1
	s_or_b64 exec, exec, s[28:29]
                                        ; implicit-def: $vgpr17
.LBB5_15:                               ;   in Loop: Header=BB5_6 Depth=1
	s_andn2_saveexec_b64 s[0:1], s[26:27]
; %bb.16:                               ;   in Loop: Header=BB5_6 Depth=1
	v_or_b32_sdwa v15, v17, s42 dst_sel:DWORD dst_unused:UNUSED_PAD src0_sel:BYTE_3 src1_sel:DWORD
; %bb.17:                               ;   in Loop: Header=BB5_6 Depth=1
	s_or_b64 exec, exec, s[0:1]
.LBB5_18:                               ;   in Loop: Header=BB5_6 Depth=1
	s_or_b64 exec, exec, s[24:25]
	v_and_b32_e32 v5, 0xffff0000, v5
	v_xor_b32_e32 v9, 0x80000000, v5
	v_bfe_u32 v14, v9, 16, 1
	v_add3_u32 v9, v9, v14, s9
	v_and_b32_e32 v9, 0xffff0000, v9
	v_cmp_o_f32_e32 vcc, v5, v5
	v_cndmask_b32_e32 v9, v27, v9, vcc
	v_mul_f32_e32 v14, 0x3fb8aa3b, v9
	v_fma_f32 v16, v9, s37, -v14
	v_rndne_f32_e32 v17, v14
	v_fmac_f32_e32 v16, 0x32a5705f, v9
	v_sub_f32_e32 v14, v14, v17
	v_add_f32_e32 v14, v14, v16
	v_exp_f32_e32 v14, v14
	v_cvt_i32_f32_e32 v16, v17
	v_cmp_ngt_f32_e32 vcc, s38, v9
	v_and_b32_e32 v1, 0xffff0000, v1
	v_ldexp_f32 v14, v14, v16
	v_cndmask_b32_e32 v14, 0, v14, vcc
	v_cmp_nlt_f32_e32 vcc, s39, v9
	v_cndmask_b32_e32 v9, v28, v14, vcc
	v_add_f32_e32 v9, 1.0, v9
	v_div_scale_f32 v14, s[0:1], v9, v9, v5
	v_div_scale_f32 v16, vcc, v5, v9, v5
	v_rcp_f32_e32 v17, v14
	v_fma_f32 v18, -v14, v17, 1.0
	v_fmac_f32_e32 v17, v18, v17
	v_mul_f32_e32 v18, v16, v17
	v_fma_f32 v19, -v14, v18, v16
	v_fmac_f32_e32 v18, v19, v17
	v_fma_f32 v14, -v14, v18, v16
	v_div_fmas_f32 v14, v14, v17, v18
	v_div_fixup_f32 v5, v14, v9, v5
	v_bfe_u32 v9, v5, 16, 1
	v_add3_u32 v9, v5, v9, s9
	v_and_b32_e32 v9, 0xffff0000, v9
	v_cmp_o_f32_e32 vcc, v5, v5
	v_cndmask_b32_e32 v5, v27, v9, vcc
	v_mul_f32_e32 v1, v5, v1
	v_bfe_u32 v5, v1, 16, 1
	v_add3_u32 v5, v1, v5, s9
	v_and_b32_e32 v5, 0xffff0000, v5
	v_cmp_o_f32_e32 vcc, v1, v1
	v_cndmask_b32_e32 v1, v27, v5, vcc
	v_mul_f32_e32 v1, v20, v1
	v_min_f32_e32 v1, 0x43600000, v1
	v_max_f32_e32 v1, 0xc3600000, v1
	v_and_b32_e32 v9, 0x7f800000, v1
	v_cmp_ne_u64_e32 vcc, s[12:13], v[9:10]
	s_and_saveexec_b64 s[24:25], vcc
	s_cbranch_execz .LBB5_30
; %bb.19:                               ;   in Loop: Header=BB5_6 Depth=1
	v_and_b32_e32 v9, 0x7fffffff, v1
	v_cmp_gt_u64_e32 vcc, s[14:15], v[9:10]
                                        ; implicit-def: $vgpr13_vgpr14
	s_and_saveexec_b64 s[0:1], vcc
	s_xor_b64 s[26:27], exec, s[0:1]
	s_cbranch_execz .LBB5_27
; %bb.20:                               ;   in Loop: Header=BB5_6 Depth=1
	v_mov_b32_e32 v13, 0
	v_cmp_ne_u32_e32 vcc, 0, v1
	v_mov_b32_e32 v14, 0
	s_and_saveexec_b64 s[28:29], vcc
	s_cbranch_execz .LBB5_26
; %bb.21:                               ;   in Loop: Header=BB5_6 Depth=1
	v_bfe_u32 v18, v1, 23, 8
	v_sub_u32_e64 v9, s40, v18 clamp
	v_cmp_eq_u32_e32 vcc, 0, v18
	v_and_b32_e32 v5, 0x7fffff, v1
	v_cndmask_b32_e32 v19, v9, v29, vcc
	v_or_b32_e32 v16, 0x800000, v5
	v_add_u32_e32 v9, 20, v19
	v_lshlrev_b64 v[13:14], v9, -1
	v_cndmask_b32_e32 v9, v16, v5, vcc
	v_add_u32_e32 v5, 19, v19
	v_lshlrev_b64 v[16:17], v5, 1
	v_bfi_b32 v14, v14, 0, 0
	v_bfi_b32 v13, v13, 0, v9
	v_cmp_eq_u64_e64 s[0:1], v[13:14], v[16:17]
	v_lshrrev_b64 v[13:14], v19, v[9:10]
	v_add_u32_e32 v5, 0xffffff89, v18
	v_cndmask_b32_e32 v5, v5, v30, vcc
	v_lshrrev_b32_e32 v9, 23, v13
	v_add3_u32 v16, v5, v19, v9
	v_and_b32_e32 v9, 0x100000, v13
	v_cmp_eq_u64_e32 vcc, 0, v[9:10]
	v_add_u32_e32 v17, -1, v16
	s_and_b64 vcc, vcc, s[0:1]
	v_subbrev_co_u32_e32 v5, vcc, 0, v13, vcc
	v_and_b32_e32 v5, 0xfffff, v5
	v_add_u32_e32 v9, v5, v13
	v_cmp_ne_u32_e32 vcc, 0, v17
                                        ; implicit-def: $vgpr13_vgpr14
                                        ; implicit-def: $vgpr5
	s_and_saveexec_b64 s[0:1], vcc
	s_xor_b64 s[0:1], exec, s[0:1]
; %bb.22:                               ;   in Loop: Header=BB5_6 Depth=1
	v_and_b32_e32 v18, 0x1000000, v9
	v_mov_b32_e32 v19, v10
	v_bfe_u32 v5, v9, 24, 1
	v_cmp_eq_u64_e32 vcc, 0, v[18:19]
	v_lshrrev_b64 v[13:14], v5, v[9:10]
	v_cndmask_b32_e32 v5, v16, v17, vcc
; %bb.23:                               ;   in Loop: Header=BB5_6 Depth=1
	s_andn2_saveexec_b64 s[0:1], s[0:1]
; %bb.24:                               ;   in Loop: Header=BB5_6 Depth=1
	v_mov_b32_e32 v14, v10
	v_bfe_u32 v5, v9, 23, 1
	v_mov_b32_e32 v13, v9
; %bb.25:                               ;   in Loop: Header=BB5_6 Depth=1
	s_or_b64 exec, exec, s[0:1]
	v_lshrrev_b64 v[13:14], 20, v[13:14]
	v_cmp_gt_i32_e32 vcc, 16, v5
	v_cndmask_b32_e32 v14, 0, v14, vcc
	v_cndmask_b32_e32 v13, 7, v13, vcc
	v_and_b32_sdwa v1, v1, s41 dst_sel:DWORD dst_unused:UNUSED_PAD src0_sel:BYTE_3 src1_sel:DWORD
	v_min_i32_e32 v9, 15, v5
	v_cmp_eq_u64_e64 s[0:1], 0, v[13:14]
	v_cmp_eq_u32_e32 vcc, 0, v5
	v_lshl_or_b32 v1, v9, 3, v1
	v_and_or_b32 v1, v13, 7, v1
	s_and_b64 s[0:1], vcc, s[0:1]
	v_cndmask_b32_e64 v13, v1, 0, s[0:1]
.LBB5_26:                               ;   in Loop: Header=BB5_6 Depth=1
	s_or_b64 exec, exec, s[28:29]
                                        ; implicit-def: $vgpr1
.LBB5_27:                               ;   in Loop: Header=BB5_6 Depth=1
	s_andn2_saveexec_b64 s[0:1], s[26:27]
; %bb.28:                               ;   in Loop: Header=BB5_6 Depth=1
	v_or_b32_sdwa v13, v1, s42 dst_sel:DWORD dst_unused:UNUSED_PAD src0_sel:BYTE_3 src1_sel:DWORD
; %bb.29:                               ;   in Loop: Header=BB5_6 Depth=1
	s_or_b64 exec, exec, s[0:1]
.LBB5_30:                               ;   in Loop: Header=BB5_6 Depth=1
	s_or_b64 exec, exec, s[24:25]
	v_lshlrev_b32_e32 v1, 16, v6
	v_xor_b32_e32 v5, 0x80000000, v1
	v_bfe_u32 v9, v5, 16, 1
	v_add3_u32 v5, v5, v9, s9
	v_and_b32_e32 v5, 0xffff0000, v5
	v_cmp_o_f32_e32 vcc, v1, v1
	v_cndmask_b32_e32 v5, v27, v5, vcc
	v_mul_f32_e32 v9, 0x3fb8aa3b, v5
	v_fma_f32 v14, v5, s37, -v9
	v_rndne_f32_e32 v16, v9
	v_fmac_f32_e32 v14, 0x32a5705f, v5
	v_sub_f32_e32 v9, v9, v16
	v_add_f32_e32 v9, v9, v14
	v_exp_f32_e32 v9, v9
	v_cvt_i32_f32_e32 v14, v16
	v_cmp_ngt_f32_e32 vcc, s38, v5
	v_ldexp_f32 v9, v9, v14
	v_cndmask_b32_e32 v9, 0, v9, vcc
	v_cmp_nlt_f32_e32 vcc, s39, v5
	v_cndmask_b32_e32 v5, v28, v9, vcc
	v_add_f32_e32 v5, 1.0, v5
	v_div_scale_f32 v9, s[0:1], v5, v5, v1
	v_div_scale_f32 v14, vcc, v1, v5, v1
	v_rcp_f32_e32 v16, v9
	v_fma_f32 v17, -v9, v16, 1.0
	v_fmac_f32_e32 v16, v17, v16
	v_mul_f32_e32 v17, v14, v16
	v_fma_f32 v18, -v9, v17, v14
	v_fmac_f32_e32 v17, v18, v16
	v_fma_f32 v9, -v9, v17, v14
	v_div_fmas_f32 v9, v9, v16, v17
	v_lshlrev_b32_e32 v14, 16, v2
	v_mov_b32_e32 v16, 0x80
	v_mov_b32_e32 v18, 0x80
	;; [unrolled: 1-line block ×4, first 2 shown]
	v_div_fixup_f32 v1, v9, v5, v1
	v_bfe_u32 v5, v1, 16, 1
	v_add3_u32 v5, v1, v5, s9
	v_and_b32_e32 v5, 0xffff0000, v5
	v_cmp_o_f32_e32 vcc, v1, v1
	v_cndmask_b32_e32 v1, v27, v5, vcc
	v_mul_f32_e32 v1, v1, v14
	v_bfe_u32 v5, v1, 16, 1
	v_add3_u32 v5, v1, v5, s9
	v_and_b32_e32 v5, 0xffff0000, v5
	v_cmp_o_f32_e32 vcc, v1, v1
	v_cndmask_b32_e32 v1, v27, v5, vcc
	v_mul_f32_e32 v1, v20, v1
	v_min_f32_e32 v1, 0x43600000, v1
	v_max_f32_e32 v1, 0xc3600000, v1
	v_and_b32_e32 v9, 0x7f800000, v1
	v_cmp_ne_u64_e32 vcc, s[12:13], v[9:10]
	s_and_saveexec_b64 s[24:25], vcc
	s_cbranch_execz .LBB5_42
; %bb.31:                               ;   in Loop: Header=BB5_6 Depth=1
	v_and_b32_e32 v9, 0x7fffffff, v1
	v_cmp_gt_u64_e32 vcc, s[14:15], v[9:10]
                                        ; implicit-def: $vgpr18_vgpr19
	s_and_saveexec_b64 s[0:1], vcc
	s_xor_b64 s[26:27], exec, s[0:1]
	s_cbranch_execz .LBB5_39
; %bb.32:                               ;   in Loop: Header=BB5_6 Depth=1
	v_mov_b32_e32 v18, 0
	v_cmp_ne_u32_e32 vcc, 0, v1
	v_mov_b32_e32 v19, 0
	s_and_saveexec_b64 s[28:29], vcc
	s_cbranch_execz .LBB5_38
; %bb.33:                               ;   in Loop: Header=BB5_6 Depth=1
	v_bfe_u32 v14, v1, 23, 8
	v_sub_u32_e64 v9, s40, v14 clamp
	v_cmp_eq_u32_e32 vcc, 0, v14
	v_and_b32_e32 v5, 0x7fffff, v1
	v_cndmask_b32_e32 v33, v9, v29, vcc
	v_or_b32_e32 v19, 0x800000, v5
	v_add_u32_e32 v9, 20, v33
	v_lshlrev_b64 v[17:18], v9, -1
	v_cndmask_b32_e32 v9, v19, v5, vcc
	v_add_u32_e32 v5, 19, v33
	v_lshlrev_b64 v[31:32], v5, 1
	v_bfi_b32 v18, v18, 0, 0
	v_bfi_b32 v17, v17, 0, v9
	v_cmp_eq_u64_e64 s[0:1], v[17:18], v[31:32]
	v_lshrrev_b64 v[17:18], v33, v[9:10]
	v_add_u32_e32 v5, 0xffffff89, v14
	v_cndmask_b32_e32 v5, v5, v30, vcc
	v_lshrrev_b32_e32 v9, 23, v17
	v_add3_u32 v14, v5, v33, v9
	v_and_b32_e32 v9, 0x100000, v17
	v_cmp_eq_u64_e32 vcc, 0, v[9:10]
	v_add_u32_e32 v19, -1, v14
	s_and_b64 vcc, vcc, s[0:1]
	v_subbrev_co_u32_e32 v5, vcc, 0, v17, vcc
	v_and_b32_e32 v5, 0xfffff, v5
	v_add_u32_e32 v9, v5, v17
	v_cmp_ne_u32_e32 vcc, 0, v19
                                        ; implicit-def: $vgpr17_vgpr18
                                        ; implicit-def: $vgpr5
	s_and_saveexec_b64 s[0:1], vcc
	s_xor_b64 s[0:1], exec, s[0:1]
; %bb.34:                               ;   in Loop: Header=BB5_6 Depth=1
	v_and_b32_e32 v31, 0x1000000, v9
	v_mov_b32_e32 v32, v10
	v_bfe_u32 v5, v9, 24, 1
	v_cmp_eq_u64_e32 vcc, 0, v[31:32]
	v_lshrrev_b64 v[17:18], v5, v[9:10]
	v_cndmask_b32_e32 v5, v14, v19, vcc
; %bb.35:                               ;   in Loop: Header=BB5_6 Depth=1
	s_andn2_saveexec_b64 s[0:1], s[0:1]
; %bb.36:                               ;   in Loop: Header=BB5_6 Depth=1
	v_mov_b32_e32 v18, v10
	v_bfe_u32 v5, v9, 23, 1
	v_mov_b32_e32 v17, v9
; %bb.37:                               ;   in Loop: Header=BB5_6 Depth=1
	s_or_b64 exec, exec, s[0:1]
	v_lshrrev_b64 v[17:18], 20, v[17:18]
	v_cmp_gt_i32_e32 vcc, 16, v5
	v_cndmask_b32_e32 v18, 0, v18, vcc
	v_cndmask_b32_e32 v17, 7, v17, vcc
	v_and_b32_sdwa v1, v1, s41 dst_sel:DWORD dst_unused:UNUSED_PAD src0_sel:BYTE_3 src1_sel:DWORD
	v_min_i32_e32 v9, 15, v5
	v_cmp_eq_u64_e64 s[0:1], 0, v[17:18]
	v_cmp_eq_u32_e32 vcc, 0, v5
	v_lshl_or_b32 v1, v9, 3, v1
	v_and_or_b32 v1, v17, 7, v1
	s_and_b64 s[0:1], vcc, s[0:1]
	v_cndmask_b32_e64 v18, v1, 0, s[0:1]
.LBB5_38:                               ;   in Loop: Header=BB5_6 Depth=1
	s_or_b64 exec, exec, s[28:29]
                                        ; implicit-def: $vgpr1
.LBB5_39:                               ;   in Loop: Header=BB5_6 Depth=1
	s_andn2_saveexec_b64 s[0:1], s[26:27]
; %bb.40:                               ;   in Loop: Header=BB5_6 Depth=1
	v_or_b32_sdwa v18, v1, s42 dst_sel:DWORD dst_unused:UNUSED_PAD src0_sel:BYTE_3 src1_sel:DWORD
; %bb.41:                               ;   in Loop: Header=BB5_6 Depth=1
	s_or_b64 exec, exec, s[0:1]
.LBB5_42:                               ;   in Loop: Header=BB5_6 Depth=1
	s_or_b64 exec, exec, s[24:25]
	v_and_b32_e32 v1, 0xffff0000, v6
	v_xor_b32_e32 v5, 0x80000000, v1
	v_bfe_u32 v6, v5, 16, 1
	v_add3_u32 v5, v5, v6, s9
	v_and_b32_e32 v5, 0xffff0000, v5
	v_cmp_o_f32_e32 vcc, v1, v1
	v_cndmask_b32_e32 v5, v27, v5, vcc
	v_mul_f32_e32 v6, 0x3fb8aa3b, v5
	v_fma_f32 v9, v5, s37, -v6
	v_rndne_f32_e32 v14, v6
	v_fmac_f32_e32 v9, 0x32a5705f, v5
	v_sub_f32_e32 v6, v6, v14
	v_add_f32_e32 v6, v6, v9
	v_exp_f32_e32 v6, v6
	v_cvt_i32_f32_e32 v9, v14
	v_cmp_ngt_f32_e32 vcc, s38, v5
	v_and_b32_e32 v2, 0xffff0000, v2
	v_ldexp_f32 v6, v6, v9
	v_cndmask_b32_e32 v6, 0, v6, vcc
	v_cmp_nlt_f32_e32 vcc, s39, v5
	v_cndmask_b32_e32 v5, v28, v6, vcc
	v_add_f32_e32 v5, 1.0, v5
	v_div_scale_f32 v6, s[0:1], v5, v5, v1
	v_div_scale_f32 v9, vcc, v1, v5, v1
	v_rcp_f32_e32 v14, v6
	v_fma_f32 v17, -v6, v14, 1.0
	v_fmac_f32_e32 v14, v17, v14
	v_mul_f32_e32 v17, v9, v14
	v_fma_f32 v19, -v6, v17, v9
	v_fmac_f32_e32 v17, v19, v14
	v_fma_f32 v6, -v6, v17, v9
	v_div_fmas_f32 v6, v6, v14, v17
	v_div_fixup_f32 v1, v6, v5, v1
	v_bfe_u32 v5, v1, 16, 1
	v_add3_u32 v5, v1, v5, s9
	v_and_b32_e32 v5, 0xffff0000, v5
	v_cmp_o_f32_e32 vcc, v1, v1
	v_cndmask_b32_e32 v1, v27, v5, vcc
	v_mul_f32_e32 v1, v1, v2
	v_bfe_u32 v2, v1, 16, 1
	v_add3_u32 v2, v1, v2, s9
	v_and_b32_e32 v2, 0xffff0000, v2
	v_cmp_o_f32_e32 vcc, v1, v1
	v_cndmask_b32_e32 v1, v27, v2, vcc
	v_mul_f32_e32 v1, v20, v1
	v_min_f32_e32 v1, 0x43600000, v1
	v_max_f32_e32 v5, 0xc3600000, v1
	v_and_b32_e32 v9, 0x7f800000, v5
	v_cmp_ne_u64_e32 vcc, s[12:13], v[9:10]
	s_and_saveexec_b64 s[24:25], vcc
	s_cbranch_execz .LBB5_54
; %bb.43:                               ;   in Loop: Header=BB5_6 Depth=1
	v_and_b32_e32 v9, 0x7fffffff, v5
	v_cmp_gt_u64_e32 vcc, s[14:15], v[9:10]
                                        ; implicit-def: $vgpr16_vgpr17
	s_and_saveexec_b64 s[0:1], vcc
	s_xor_b64 s[26:27], exec, s[0:1]
	s_cbranch_execz .LBB5_51
; %bb.44:                               ;   in Loop: Header=BB5_6 Depth=1
	v_mov_b32_e32 v16, 0
	v_cmp_ne_u32_e32 vcc, 0, v5
	v_mov_b32_e32 v17, 0
	s_and_saveexec_b64 s[28:29], vcc
	s_cbranch_execz .LBB5_50
; %bb.45:                               ;   in Loop: Header=BB5_6 Depth=1
	v_bfe_u32 v14, v5, 23, 8
	v_sub_u32_e64 v1, s40, v14 clamp
	v_cmp_eq_u32_e32 vcc, 0, v14
	v_and_b32_e32 v6, 0x7fffff, v5
	v_cndmask_b32_e32 v19, v1, v29, vcc
	v_or_b32_e32 v9, 0x800000, v6
	v_add_u32_e32 v1, 20, v19
	v_lshlrev_b64 v[1:2], v1, -1
	v_cndmask_b32_e32 v9, v9, v6, vcc
	v_add_u32_e32 v6, 19, v19
	v_lshlrev_b64 v[16:17], v6, 1
	v_bfi_b32 v2, v2, 0, 0
	v_bfi_b32 v1, v1, 0, v9
	v_cmp_eq_u64_e64 s[0:1], v[1:2], v[16:17]
	v_lshrrev_b64 v[1:2], v19, v[9:10]
	v_add_u32_e32 v2, 0xffffff89, v14
	v_and_b32_e32 v9, 0x100000, v1
	v_cndmask_b32_e32 v2, v2, v30, vcc
	v_cmp_eq_u64_e32 vcc, 0, v[9:10]
	v_lshrrev_b32_e32 v6, 23, v1
	s_and_b64 vcc, vcc, s[0:1]
	v_add3_u32 v14, v2, v19, v6
	v_subbrev_co_u32_e32 v2, vcc, 0, v1, vcc
	v_add_u32_e32 v16, -1, v14
	v_and_b32_e32 v2, 0xfffff, v2
	v_add_u32_e32 v9, v2, v1
	v_cmp_ne_u32_e32 vcc, 0, v16
                                        ; implicit-def: $vgpr1_vgpr2
                                        ; implicit-def: $vgpr6
	s_and_saveexec_b64 s[0:1], vcc
	s_xor_b64 s[0:1], exec, s[0:1]
; %bb.46:                               ;   in Loop: Header=BB5_6 Depth=1
	v_and_b32_e32 v31, 0x1000000, v9
	v_mov_b32_e32 v32, v10
	v_bfe_u32 v1, v9, 24, 1
	v_cmp_eq_u64_e32 vcc, 0, v[31:32]
	v_lshrrev_b64 v[1:2], v1, v[9:10]
	v_cndmask_b32_e32 v6, v14, v16, vcc
; %bb.47:                               ;   in Loop: Header=BB5_6 Depth=1
	s_andn2_saveexec_b64 s[0:1], s[0:1]
; %bb.48:                               ;   in Loop: Header=BB5_6 Depth=1
	v_mov_b32_e32 v1, v9
	v_bfe_u32 v6, v9, 23, 1
	v_mov_b32_e32 v2, v10
; %bb.49:                               ;   in Loop: Header=BB5_6 Depth=1
	s_or_b64 exec, exec, s[0:1]
	v_lshrrev_b64 v[1:2], 20, v[1:2]
	v_cmp_gt_i32_e32 vcc, 16, v6
	v_cndmask_b32_e32 v2, 0, v2, vcc
	v_cndmask_b32_e32 v1, 7, v1, vcc
	v_and_b32_sdwa v5, v5, s41 dst_sel:DWORD dst_unused:UNUSED_PAD src0_sel:BYTE_3 src1_sel:DWORD
	v_min_i32_e32 v9, 15, v6
	v_cmp_eq_u64_e64 s[0:1], 0, v[1:2]
	v_cmp_eq_u32_e32 vcc, 0, v6
	v_lshl_or_b32 v2, v9, 3, v5
	v_and_or_b32 v1, v1, 7, v2
	s_and_b64 s[0:1], vcc, s[0:1]
	v_cndmask_b32_e64 v16, v1, 0, s[0:1]
.LBB5_50:                               ;   in Loop: Header=BB5_6 Depth=1
	s_or_b64 exec, exec, s[28:29]
                                        ; implicit-def: $vgpr5
.LBB5_51:                               ;   in Loop: Header=BB5_6 Depth=1
	s_andn2_saveexec_b64 s[0:1], s[26:27]
; %bb.52:                               ;   in Loop: Header=BB5_6 Depth=1
	v_or_b32_sdwa v16, v5, s42 dst_sel:DWORD dst_unused:UNUSED_PAD src0_sel:BYTE_3 src1_sel:DWORD
; %bb.53:                               ;   in Loop: Header=BB5_6 Depth=1
	s_or_b64 exec, exec, s[0:1]
.LBB5_54:                               ;   in Loop: Header=BB5_6 Depth=1
	s_or_b64 exec, exec, s[24:25]
	v_lshlrev_b32_e32 v5, 16, v7
	v_xor_b32_e32 v1, 0x80000000, v5
	v_bfe_u32 v2, v1, 16, 1
	v_add3_u32 v1, v1, v2, s9
	v_and_b32_e32 v1, 0xffff0000, v1
	v_cmp_o_f32_e32 vcc, v5, v5
	v_cndmask_b32_e32 v1, v27, v1, vcc
	v_mul_f32_e32 v2, 0x3fb8aa3b, v1
	v_fma_f32 v6, v1, s37, -v2
	v_rndne_f32_e32 v9, v2
	v_fmac_f32_e32 v6, 0x32a5705f, v1
	v_sub_f32_e32 v2, v2, v9
	v_add_f32_e32 v2, v2, v6
	v_exp_f32_e32 v2, v2
	v_cvt_i32_f32_e32 v6, v9
	v_cmp_ngt_f32_e32 vcc, s38, v1
	v_ldexp_f32 v2, v2, v6
	v_cndmask_b32_e32 v2, 0, v2, vcc
	v_cmp_nlt_f32_e32 vcc, s39, v1
	v_cndmask_b32_e32 v1, v28, v2, vcc
	v_add_f32_e32 v6, 1.0, v1
	v_div_scale_f32 v1, s[0:1], v6, v6, v5
	v_div_scale_f32 v2, vcc, v5, v6, v5
	v_rcp_f32_e32 v9, v1
	v_fma_f32 v14, -v1, v9, 1.0
	v_fmac_f32_e32 v9, v14, v9
	v_mul_f32_e32 v14, v2, v9
	v_fma_f32 v17, -v1, v14, v2
	v_fmac_f32_e32 v14, v17, v9
	v_fma_f32 v1, -v1, v14, v2
	v_div_fmas_f32 v9, v1, v9, v14
	v_mov_b32_e32 v1, 0x80
	v_mov_b32_e32 v2, 0
	v_lshlrev_b32_e32 v14, 16, v3
	v_div_fixup_f32 v2, v9, v6, v5
	v_bfe_u32 v5, v2, 16, 1
	v_add3_u32 v5, v2, v5, s9
	v_and_b32_e32 v5, 0xffff0000, v5
	v_cmp_o_f32_e32 vcc, v2, v2
	v_cndmask_b32_e32 v2, v27, v5, vcc
	v_mul_f32_e32 v2, v2, v14
	v_bfe_u32 v5, v2, 16, 1
	v_add3_u32 v5, v2, v5, s9
	v_and_b32_e32 v5, 0xffff0000, v5
	v_cmp_o_f32_e32 vcc, v2, v2
	v_cndmask_b32_e32 v2, v27, v5, vcc
	v_mul_f32_e32 v2, v20, v2
	v_min_f32_e32 v2, 0x43600000, v2
	v_max_f32_e32 v2, 0xc3600000, v2
	v_and_b32_e32 v9, 0x7f800000, v2
	v_cmp_ne_u64_e32 vcc, s[12:13], v[9:10]
	v_mov_b32_e32 v5, 0x80
	v_mov_b32_e32 v6, 0
	s_and_saveexec_b64 s[24:25], vcc
	s_cbranch_execz .LBB5_66
; %bb.55:                               ;   in Loop: Header=BB5_6 Depth=1
	v_and_b32_e32 v9, 0x7fffffff, v2
	v_cmp_gt_u64_e32 vcc, s[14:15], v[9:10]
                                        ; implicit-def: $vgpr5_vgpr6
	s_and_saveexec_b64 s[0:1], vcc
	s_xor_b64 s[26:27], exec, s[0:1]
	s_cbranch_execz .LBB5_63
; %bb.56:                               ;   in Loop: Header=BB5_6 Depth=1
	v_mov_b32_e32 v5, 0
	v_cmp_ne_u32_e32 vcc, 0, v2
	v_mov_b32_e32 v6, 0
	s_and_saveexec_b64 s[28:29], vcc
	s_cbranch_execz .LBB5_62
; %bb.57:                               ;   in Loop: Header=BB5_6 Depth=1
	v_bfe_u32 v14, v2, 23, 8
	v_sub_u32_e64 v5, s40, v14 clamp
	v_cmp_eq_u32_e32 vcc, 0, v14
	v_and_b32_e32 v9, 0x7fffff, v2
	v_cndmask_b32_e32 v19, v5, v29, vcc
	v_or_b32_e32 v17, 0x800000, v9
	v_add_u32_e32 v5, 20, v19
	v_lshlrev_b64 v[5:6], v5, -1
	v_cndmask_b32_e32 v9, v17, v9, vcc
	v_add_u32_e32 v17, 19, v19
	v_lshlrev_b64 v[31:32], v17, 1
	v_bfi_b32 v6, v6, 0, 0
	v_bfi_b32 v5, v5, 0, v9
	v_cmp_eq_u64_e64 s[0:1], v[5:6], v[31:32]
	v_lshrrev_b64 v[5:6], v19, v[9:10]
	v_add_u32_e32 v6, 0xffffff89, v14
	v_cndmask_b32_e32 v6, v6, v30, vcc
	v_lshrrev_b32_e32 v9, 23, v5
	v_add3_u32 v17, v6, v19, v9
	v_and_b32_e32 v9, 0x100000, v5
	v_cmp_eq_u64_e32 vcc, 0, v[9:10]
	v_add_u32_e32 v19, -1, v17
	s_and_b64 vcc, vcc, s[0:1]
	v_subbrev_co_u32_e32 v6, vcc, 0, v5, vcc
	v_and_b32_e32 v6, 0xfffff, v6
	v_add_u32_e32 v9, v6, v5
	v_cmp_ne_u32_e32 vcc, 0, v19
                                        ; implicit-def: $vgpr5_vgpr6
                                        ; implicit-def: $vgpr14
	s_and_saveexec_b64 s[0:1], vcc
	s_xor_b64 s[0:1], exec, s[0:1]
; %bb.58:                               ;   in Loop: Header=BB5_6 Depth=1
	v_and_b32_e32 v31, 0x1000000, v9
	v_mov_b32_e32 v32, v10
	v_bfe_u32 v5, v9, 24, 1
	v_cmp_eq_u64_e32 vcc, 0, v[31:32]
	v_lshrrev_b64 v[5:6], v5, v[9:10]
	v_cndmask_b32_e32 v14, v17, v19, vcc
; %bb.59:                               ;   in Loop: Header=BB5_6 Depth=1
	s_andn2_saveexec_b64 s[0:1], s[0:1]
; %bb.60:                               ;   in Loop: Header=BB5_6 Depth=1
	v_mov_b32_e32 v5, v9
	v_bfe_u32 v14, v9, 23, 1
	v_mov_b32_e32 v6, v10
; %bb.61:                               ;   in Loop: Header=BB5_6 Depth=1
	s_or_b64 exec, exec, s[0:1]
	v_lshrrev_b64 v[5:6], 20, v[5:6]
	v_cmp_gt_i32_e32 vcc, 16, v14
	v_cndmask_b32_e32 v6, 0, v6, vcc
	v_cndmask_b32_e32 v5, 7, v5, vcc
	v_and_b32_sdwa v2, v2, s41 dst_sel:DWORD dst_unused:UNUSED_PAD src0_sel:BYTE_3 src1_sel:DWORD
	v_min_i32_e32 v9, 15, v14
	v_cmp_eq_u64_e64 s[0:1], 0, v[5:6]
	v_cmp_eq_u32_e32 vcc, 0, v14
	v_lshl_or_b32 v2, v9, 3, v2
	v_and_or_b32 v2, v5, 7, v2
	s_and_b64 s[0:1], vcc, s[0:1]
	v_cndmask_b32_e64 v5, v2, 0, s[0:1]
.LBB5_62:                               ;   in Loop: Header=BB5_6 Depth=1
	s_or_b64 exec, exec, s[28:29]
                                        ; implicit-def: $vgpr2
.LBB5_63:                               ;   in Loop: Header=BB5_6 Depth=1
	s_andn2_saveexec_b64 s[0:1], s[26:27]
; %bb.64:                               ;   in Loop: Header=BB5_6 Depth=1
	v_or_b32_sdwa v5, v2, s42 dst_sel:DWORD dst_unused:UNUSED_PAD src0_sel:BYTE_3 src1_sel:DWORD
; %bb.65:                               ;   in Loop: Header=BB5_6 Depth=1
	s_or_b64 exec, exec, s[0:1]
.LBB5_66:                               ;   in Loop: Header=BB5_6 Depth=1
	s_or_b64 exec, exec, s[24:25]
	v_and_b32_e32 v2, 0xffff0000, v7
	v_xor_b32_e32 v6, 0x80000000, v2
	v_bfe_u32 v7, v6, 16, 1
	v_add3_u32 v6, v6, v7, s9
	v_and_b32_e32 v6, 0xffff0000, v6
	v_cmp_o_f32_e32 vcc, v2, v2
	v_cndmask_b32_e32 v6, v27, v6, vcc
	v_mul_f32_e32 v7, 0x3fb8aa3b, v6
	v_fma_f32 v9, v6, s37, -v7
	v_rndne_f32_e32 v14, v7
	v_fmac_f32_e32 v9, 0x32a5705f, v6
	v_sub_f32_e32 v7, v7, v14
	v_add_f32_e32 v7, v7, v9
	v_exp_f32_e32 v7, v7
	v_cvt_i32_f32_e32 v9, v14
	v_cmp_ngt_f32_e32 vcc, s38, v6
	v_and_b32_e32 v3, 0xffff0000, v3
	v_ldexp_f32 v7, v7, v9
	v_cndmask_b32_e32 v7, 0, v7, vcc
	v_cmp_nlt_f32_e32 vcc, s39, v6
	v_cndmask_b32_e32 v6, v28, v7, vcc
	v_add_f32_e32 v6, 1.0, v6
	v_div_scale_f32 v7, s[0:1], v6, v6, v2
	v_div_scale_f32 v9, vcc, v2, v6, v2
	v_rcp_f32_e32 v14, v7
	v_fma_f32 v17, -v7, v14, 1.0
	v_fmac_f32_e32 v14, v17, v14
	v_mul_f32_e32 v17, v9, v14
	v_fma_f32 v19, -v7, v17, v9
	v_fmac_f32_e32 v17, v19, v14
	v_fma_f32 v7, -v7, v17, v9
	v_div_fmas_f32 v7, v7, v14, v17
	v_div_fixup_f32 v2, v7, v6, v2
	v_bfe_u32 v6, v2, 16, 1
	v_add3_u32 v6, v2, v6, s9
	v_and_b32_e32 v6, 0xffff0000, v6
	v_cmp_o_f32_e32 vcc, v2, v2
	v_cndmask_b32_e32 v2, v27, v6, vcc
	v_mul_f32_e32 v2, v2, v3
	v_bfe_u32 v3, v2, 16, 1
	v_add3_u32 v3, v2, v3, s9
	v_and_b32_e32 v3, 0xffff0000, v3
	v_cmp_o_f32_e32 vcc, v2, v2
	v_cndmask_b32_e32 v2, v27, v3, vcc
	v_mul_f32_e32 v2, v20, v2
	v_min_f32_e32 v2, 0x43600000, v2
	v_max_f32_e32 v3, 0xc3600000, v2
	v_and_b32_e32 v9, 0x7f800000, v3
	v_cmp_ne_u64_e32 vcc, s[12:13], v[9:10]
	s_and_saveexec_b64 s[24:25], vcc
	s_cbranch_execz .LBB5_78
; %bb.67:                               ;   in Loop: Header=BB5_6 Depth=1
	v_and_b32_e32 v9, 0x7fffffff, v3
	v_cmp_gt_u64_e32 vcc, s[14:15], v[9:10]
                                        ; implicit-def: $vgpr1_vgpr2
	s_and_saveexec_b64 s[0:1], vcc
	s_xor_b64 s[26:27], exec, s[0:1]
	s_cbranch_execz .LBB5_75
; %bb.68:                               ;   in Loop: Header=BB5_6 Depth=1
	v_mov_b32_e32 v1, 0
	v_cmp_ne_u32_e32 vcc, 0, v3
	v_mov_b32_e32 v2, 0
	s_and_saveexec_b64 s[28:29], vcc
	s_cbranch_execz .LBB5_74
; %bb.69:                               ;   in Loop: Header=BB5_6 Depth=1
	v_bfe_u32 v14, v3, 23, 8
	v_sub_u32_e64 v1, s40, v14 clamp
	v_cmp_eq_u32_e32 vcc, 0, v14
	v_and_b32_e32 v6, 0x7fffff, v3
	v_cndmask_b32_e32 v17, v1, v29, vcc
	v_or_b32_e32 v7, 0x800000, v6
	v_add_u32_e32 v1, 20, v17
	v_lshlrev_b64 v[1:2], v1, -1
	v_cndmask_b32_e32 v9, v7, v6, vcc
	v_add_u32_e32 v6, 19, v17
	v_lshlrev_b64 v[6:7], v6, 1
	v_bfi_b32 v2, v2, 0, 0
	v_bfi_b32 v1, v1, 0, v9
	v_cmp_eq_u64_e64 s[0:1], v[1:2], v[6:7]
	v_lshrrev_b64 v[1:2], v17, v[9:10]
	v_add_u32_e32 v2, 0xffffff89, v14
	v_and_b32_e32 v9, 0x100000, v1
	v_cndmask_b32_e32 v2, v2, v30, vcc
	v_cmp_eq_u64_e32 vcc, 0, v[9:10]
	v_lshrrev_b32_e32 v6, 23, v1
	s_and_b64 vcc, vcc, s[0:1]
	v_add3_u32 v7, v2, v17, v6
	v_subbrev_co_u32_e32 v2, vcc, 0, v1, vcc
	v_add_u32_e32 v14, -1, v7
	v_and_b32_e32 v2, 0xfffff, v2
	v_add_u32_e32 v9, v2, v1
	v_cmp_ne_u32_e32 vcc, 0, v14
                                        ; implicit-def: $vgpr1_vgpr2
                                        ; implicit-def: $vgpr6
	s_and_saveexec_b64 s[0:1], vcc
	s_xor_b64 s[0:1], exec, s[0:1]
; %bb.70:                               ;   in Loop: Header=BB5_6 Depth=1
	v_and_b32_e32 v31, 0x1000000, v9
	v_mov_b32_e32 v32, v10
	v_bfe_u32 v1, v9, 24, 1
	v_cmp_eq_u64_e32 vcc, 0, v[31:32]
	v_lshrrev_b64 v[1:2], v1, v[9:10]
	v_cndmask_b32_e32 v6, v7, v14, vcc
; %bb.71:                               ;   in Loop: Header=BB5_6 Depth=1
	s_andn2_saveexec_b64 s[0:1], s[0:1]
; %bb.72:                               ;   in Loop: Header=BB5_6 Depth=1
	v_mov_b32_e32 v1, v9
	v_bfe_u32 v6, v9, 23, 1
	v_mov_b32_e32 v2, v10
; %bb.73:                               ;   in Loop: Header=BB5_6 Depth=1
	s_or_b64 exec, exec, s[0:1]
	v_lshrrev_b64 v[1:2], 20, v[1:2]
	v_cmp_gt_i32_e32 vcc, 16, v6
	v_cndmask_b32_e32 v2, 0, v2, vcc
	v_cndmask_b32_e32 v1, 7, v1, vcc
	v_and_b32_sdwa v3, v3, s41 dst_sel:DWORD dst_unused:UNUSED_PAD src0_sel:BYTE_3 src1_sel:DWORD
	v_min_i32_e32 v7, 15, v6
	v_cmp_eq_u64_e64 s[0:1], 0, v[1:2]
	v_cmp_eq_u32_e32 vcc, 0, v6
	v_lshl_or_b32 v2, v7, 3, v3
	v_and_or_b32 v1, v1, 7, v2
	s_and_b64 s[0:1], vcc, s[0:1]
	v_cndmask_b32_e64 v1, v1, 0, s[0:1]
.LBB5_74:                               ;   in Loop: Header=BB5_6 Depth=1
	s_or_b64 exec, exec, s[28:29]
                                        ; implicit-def: $vgpr3
.LBB5_75:                               ;   in Loop: Header=BB5_6 Depth=1
	s_andn2_saveexec_b64 s[0:1], s[26:27]
; %bb.76:                               ;   in Loop: Header=BB5_6 Depth=1
	v_or_b32_sdwa v1, v3, s42 dst_sel:DWORD dst_unused:UNUSED_PAD src0_sel:BYTE_3 src1_sel:DWORD
; %bb.77:                               ;   in Loop: Header=BB5_6 Depth=1
	s_or_b64 exec, exec, s[0:1]
.LBB5_78:                               ;   in Loop: Header=BB5_6 Depth=1
	s_or_b64 exec, exec, s[24:25]
	v_lshlrev_b32_e32 v6, 16, v8
	v_xor_b32_e32 v2, 0x80000000, v6
	v_bfe_u32 v3, v2, 16, 1
	v_add3_u32 v2, v2, v3, s9
	v_and_b32_e32 v2, 0xffff0000, v2
	v_cmp_o_f32_e32 vcc, v6, v6
	v_cndmask_b32_e32 v2, v27, v2, vcc
	v_mul_f32_e32 v3, 0x3fb8aa3b, v2
	v_fma_f32 v7, v2, s37, -v3
	v_rndne_f32_e32 v9, v3
	v_fmac_f32_e32 v7, 0x32a5705f, v2
	v_sub_f32_e32 v3, v3, v9
	v_add_f32_e32 v3, v3, v7
	v_exp_f32_e32 v3, v3
	v_cvt_i32_f32_e32 v7, v9
	v_cmp_ngt_f32_e32 vcc, s38, v2
	v_ldexp_f32 v3, v3, v7
	v_cndmask_b32_e32 v3, 0, v3, vcc
	v_cmp_nlt_f32_e32 vcc, s39, v2
	v_cndmask_b32_e32 v2, v28, v3, vcc
	v_add_f32_e32 v7, 1.0, v2
	v_div_scale_f32 v2, s[0:1], v7, v7, v6
	v_div_scale_f32 v3, vcc, v6, v7, v6
	v_rcp_f32_e32 v9, v2
	v_fma_f32 v14, -v2, v9, 1.0
	v_fmac_f32_e32 v9, v14, v9
	v_mul_f32_e32 v14, v3, v9
	v_fma_f32 v17, -v2, v14, v3
	v_fmac_f32_e32 v14, v17, v9
	v_fma_f32 v2, -v2, v14, v3
	v_div_fmas_f32 v9, v2, v9, v14
	v_mov_b32_e32 v2, 0x80
	v_mov_b32_e32 v3, 0
	v_lshlrev_b32_e32 v14, 16, v4
	v_div_fixup_f32 v3, v9, v7, v6
	v_bfe_u32 v6, v3, 16, 1
	v_add3_u32 v6, v3, v6, s9
	v_and_b32_e32 v6, 0xffff0000, v6
	v_cmp_o_f32_e32 vcc, v3, v3
	v_cndmask_b32_e32 v3, v27, v6, vcc
	v_mul_f32_e32 v3, v3, v14
	v_bfe_u32 v6, v3, 16, 1
	v_add3_u32 v6, v3, v6, s9
	v_and_b32_e32 v6, 0xffff0000, v6
	v_cmp_o_f32_e32 vcc, v3, v3
	v_cndmask_b32_e32 v3, v27, v6, vcc
	v_mul_f32_e32 v3, v20, v3
	v_min_f32_e32 v3, 0x43600000, v3
	v_max_f32_e32 v3, 0xc3600000, v3
	v_and_b32_e32 v9, 0x7f800000, v3
	v_cmp_ne_u64_e32 vcc, s[12:13], v[9:10]
	v_mov_b32_e32 v6, 0x80
	v_mov_b32_e32 v7, 0
	s_and_saveexec_b64 s[24:25], vcc
	s_cbranch_execz .LBB5_90
; %bb.79:                               ;   in Loop: Header=BB5_6 Depth=1
	v_and_b32_e32 v9, 0x7fffffff, v3
	v_cmp_gt_u64_e32 vcc, s[14:15], v[9:10]
                                        ; implicit-def: $vgpr6_vgpr7
	s_and_saveexec_b64 s[0:1], vcc
	s_xor_b64 s[26:27], exec, s[0:1]
	s_cbranch_execz .LBB5_87
; %bb.80:                               ;   in Loop: Header=BB5_6 Depth=1
	v_mov_b32_e32 v6, 0
	v_cmp_ne_u32_e32 vcc, 0, v3
	v_mov_b32_e32 v7, 0
	s_and_saveexec_b64 s[28:29], vcc
	s_cbranch_execz .LBB5_86
; %bb.81:                               ;   in Loop: Header=BB5_6 Depth=1
	v_bfe_u32 v14, v3, 23, 8
	v_sub_u32_e64 v6, s40, v14 clamp
	v_cmp_eq_u32_e32 vcc, 0, v14
	v_and_b32_e32 v9, 0x7fffff, v3
	v_cndmask_b32_e32 v19, v6, v29, vcc
	v_or_b32_e32 v17, 0x800000, v9
	v_add_u32_e32 v6, 20, v19
	v_lshlrev_b64 v[6:7], v6, -1
	v_cndmask_b32_e32 v9, v17, v9, vcc
	v_add_u32_e32 v17, 19, v19
	v_lshlrev_b64 v[31:32], v17, 1
	v_bfi_b32 v7, v7, 0, 0
	v_bfi_b32 v6, v6, 0, v9
	v_cmp_eq_u64_e64 s[0:1], v[6:7], v[31:32]
	v_lshrrev_b64 v[6:7], v19, v[9:10]
	v_add_u32_e32 v7, 0xffffff89, v14
	v_cndmask_b32_e32 v7, v7, v30, vcc
	v_lshrrev_b32_e32 v9, 23, v6
	v_add3_u32 v17, v7, v19, v9
	v_and_b32_e32 v9, 0x100000, v6
	v_cmp_eq_u64_e32 vcc, 0, v[9:10]
	v_add_u32_e32 v19, -1, v17
	s_and_b64 vcc, vcc, s[0:1]
	v_subbrev_co_u32_e32 v7, vcc, 0, v6, vcc
	v_and_b32_e32 v7, 0xfffff, v7
	v_add_u32_e32 v9, v7, v6
	v_cmp_ne_u32_e32 vcc, 0, v19
                                        ; implicit-def: $vgpr6_vgpr7
                                        ; implicit-def: $vgpr14
	s_and_saveexec_b64 s[0:1], vcc
	s_xor_b64 s[0:1], exec, s[0:1]
; %bb.82:                               ;   in Loop: Header=BB5_6 Depth=1
	v_and_b32_e32 v31, 0x1000000, v9
	v_mov_b32_e32 v32, v10
	v_bfe_u32 v6, v9, 24, 1
	v_cmp_eq_u64_e32 vcc, 0, v[31:32]
	v_lshrrev_b64 v[6:7], v6, v[9:10]
	v_cndmask_b32_e32 v14, v17, v19, vcc
; %bb.83:                               ;   in Loop: Header=BB5_6 Depth=1
	s_andn2_saveexec_b64 s[0:1], s[0:1]
; %bb.84:                               ;   in Loop: Header=BB5_6 Depth=1
	v_mov_b32_e32 v6, v9
	v_bfe_u32 v14, v9, 23, 1
	v_mov_b32_e32 v7, v10
; %bb.85:                               ;   in Loop: Header=BB5_6 Depth=1
	s_or_b64 exec, exec, s[0:1]
	v_lshrrev_b64 v[6:7], 20, v[6:7]
	v_cmp_gt_i32_e32 vcc, 16, v14
	v_cndmask_b32_e32 v7, 0, v7, vcc
	v_cndmask_b32_e32 v6, 7, v6, vcc
	v_and_b32_sdwa v3, v3, s41 dst_sel:DWORD dst_unused:UNUSED_PAD src0_sel:BYTE_3 src1_sel:DWORD
	v_min_i32_e32 v9, 15, v14
	v_cmp_eq_u64_e64 s[0:1], 0, v[6:7]
	v_cmp_eq_u32_e32 vcc, 0, v14
	v_lshl_or_b32 v3, v9, 3, v3
	v_and_or_b32 v3, v6, 7, v3
	s_and_b64 s[0:1], vcc, s[0:1]
	v_cndmask_b32_e64 v6, v3, 0, s[0:1]
.LBB5_86:                               ;   in Loop: Header=BB5_6 Depth=1
	s_or_b64 exec, exec, s[28:29]
                                        ; implicit-def: $vgpr3
.LBB5_87:                               ;   in Loop: Header=BB5_6 Depth=1
	s_andn2_saveexec_b64 s[0:1], s[26:27]
; %bb.88:                               ;   in Loop: Header=BB5_6 Depth=1
	v_or_b32_sdwa v6, v3, s42 dst_sel:DWORD dst_unused:UNUSED_PAD src0_sel:BYTE_3 src1_sel:DWORD
; %bb.89:                               ;   in Loop: Header=BB5_6 Depth=1
	s_or_b64 exec, exec, s[0:1]
.LBB5_90:                               ;   in Loop: Header=BB5_6 Depth=1
	s_or_b64 exec, exec, s[24:25]
	v_and_b32_e32 v3, 0xffff0000, v8
	v_xor_b32_e32 v7, 0x80000000, v3
	v_bfe_u32 v8, v7, 16, 1
	v_add3_u32 v7, v7, v8, s9
	v_and_b32_e32 v7, 0xffff0000, v7
	v_cmp_o_f32_e32 vcc, v3, v3
	v_cndmask_b32_e32 v7, v27, v7, vcc
	v_mul_f32_e32 v8, 0x3fb8aa3b, v7
	v_fma_f32 v9, v7, s37, -v8
	v_rndne_f32_e32 v14, v8
	v_fmac_f32_e32 v9, 0x32a5705f, v7
	v_sub_f32_e32 v8, v8, v14
	v_add_f32_e32 v8, v8, v9
	v_exp_f32_e32 v8, v8
	v_cvt_i32_f32_e32 v9, v14
	v_cmp_ngt_f32_e32 vcc, s38, v7
	v_and_b32_e32 v4, 0xffff0000, v4
	v_ldexp_f32 v8, v8, v9
	v_cndmask_b32_e32 v8, 0, v8, vcc
	v_cmp_nlt_f32_e32 vcc, s39, v7
	v_cndmask_b32_e32 v7, v28, v8, vcc
	v_add_f32_e32 v7, 1.0, v7
	v_div_scale_f32 v8, s[0:1], v7, v7, v3
	v_div_scale_f32 v9, vcc, v3, v7, v3
	v_rcp_f32_e32 v14, v8
	v_fma_f32 v17, -v8, v14, 1.0
	v_fmac_f32_e32 v14, v17, v14
	v_mul_f32_e32 v17, v9, v14
	v_fma_f32 v19, -v8, v17, v9
	v_fmac_f32_e32 v17, v19, v14
	v_fma_f32 v8, -v8, v17, v9
	v_div_fmas_f32 v8, v8, v14, v17
	v_div_fixup_f32 v3, v8, v7, v3
	v_bfe_u32 v7, v3, 16, 1
	v_add3_u32 v7, v3, v7, s9
	v_and_b32_e32 v7, 0xffff0000, v7
	v_cmp_o_f32_e32 vcc, v3, v3
	v_cndmask_b32_e32 v3, v27, v7, vcc
	v_mul_f32_e32 v3, v3, v4
	v_bfe_u32 v4, v3, 16, 1
	v_add3_u32 v4, v3, v4, s9
	v_and_b32_e32 v4, 0xffff0000, v4
	v_cmp_o_f32_e32 vcc, v3, v3
	v_cndmask_b32_e32 v3, v27, v4, vcc
	v_mul_f32_e32 v3, v20, v3
	v_min_f32_e32 v3, 0x43600000, v3
	v_max_f32_e32 v4, 0xc3600000, v3
	v_and_b32_e32 v9, 0x7f800000, v4
	v_cmp_ne_u64_e32 vcc, s[12:13], v[9:10]
	s_and_saveexec_b64 s[24:25], vcc
	s_cbranch_execz .LBB5_5
; %bb.91:                               ;   in Loop: Header=BB5_6 Depth=1
	v_and_b32_e32 v9, 0x7fffffff, v4
	v_cmp_gt_u64_e32 vcc, s[14:15], v[9:10]
                                        ; implicit-def: $vgpr2_vgpr3
	s_and_saveexec_b64 s[0:1], vcc
	s_xor_b64 s[26:27], exec, s[0:1]
	s_cbranch_execz .LBB5_99
; %bb.92:                               ;   in Loop: Header=BB5_6 Depth=1
	v_mov_b32_e32 v2, 0
	v_cmp_ne_u32_e32 vcc, 0, v4
	v_mov_b32_e32 v3, 0
	s_and_saveexec_b64 s[28:29], vcc
	s_cbranch_execz .LBB5_98
; %bb.93:                               ;   in Loop: Header=BB5_6 Depth=1
	v_bfe_u32 v14, v4, 23, 8
	v_sub_u32_e64 v2, s40, v14 clamp
	v_cmp_eq_u32_e32 vcc, 0, v14
	v_and_b32_e32 v7, 0x7fffff, v4
	v_cndmask_b32_e32 v17, v2, v29, vcc
	v_or_b32_e32 v8, 0x800000, v7
	v_add_u32_e32 v2, 20, v17
	v_lshlrev_b64 v[2:3], v2, -1
	v_cndmask_b32_e32 v9, v8, v7, vcc
	v_add_u32_e32 v7, 19, v17
	v_lshlrev_b64 v[7:8], v7, 1
	v_bfi_b32 v3, v3, 0, 0
	v_bfi_b32 v2, v2, 0, v9
	v_cmp_eq_u64_e64 s[0:1], v[2:3], v[7:8]
	v_lshrrev_b64 v[2:3], v17, v[9:10]
	v_add_u32_e32 v3, 0xffffff89, v14
	v_and_b32_e32 v9, 0x100000, v2
	v_cndmask_b32_e32 v3, v3, v30, vcc
	v_cmp_eq_u64_e32 vcc, 0, v[9:10]
	v_lshrrev_b32_e32 v7, 23, v2
	s_and_b64 vcc, vcc, s[0:1]
	v_add3_u32 v8, v3, v17, v7
	v_subbrev_co_u32_e32 v3, vcc, 0, v2, vcc
	v_add_u32_e32 v14, -1, v8
	v_and_b32_e32 v3, 0xfffff, v3
	v_add_u32_e32 v9, v3, v2
	v_cmp_ne_u32_e32 vcc, 0, v14
                                        ; implicit-def: $vgpr2_vgpr3
                                        ; implicit-def: $vgpr7
	s_and_saveexec_b64 s[0:1], vcc
	s_xor_b64 s[0:1], exec, s[0:1]
; %bb.94:                               ;   in Loop: Header=BB5_6 Depth=1
	v_and_b32_e32 v31, 0x1000000, v9
	v_mov_b32_e32 v32, v10
	v_bfe_u32 v2, v9, 24, 1
	v_cmp_eq_u64_e32 vcc, 0, v[31:32]
	v_lshrrev_b64 v[2:3], v2, v[9:10]
	v_cndmask_b32_e32 v7, v8, v14, vcc
; %bb.95:                               ;   in Loop: Header=BB5_6 Depth=1
	s_andn2_saveexec_b64 s[0:1], s[0:1]
; %bb.96:                               ;   in Loop: Header=BB5_6 Depth=1
	v_mov_b32_e32 v2, v9
	v_bfe_u32 v7, v9, 23, 1
	v_mov_b32_e32 v3, v10
; %bb.97:                               ;   in Loop: Header=BB5_6 Depth=1
	s_or_b64 exec, exec, s[0:1]
	v_lshrrev_b64 v[2:3], 20, v[2:3]
	v_cmp_gt_i32_e32 vcc, 16, v7
	v_cndmask_b32_e32 v3, 0, v3, vcc
	v_cndmask_b32_e32 v2, 7, v2, vcc
	v_and_b32_sdwa v4, v4, s41 dst_sel:DWORD dst_unused:UNUSED_PAD src0_sel:BYTE_3 src1_sel:DWORD
	v_min_i32_e32 v8, 15, v7
	v_cmp_eq_u64_e64 s[0:1], 0, v[2:3]
	v_cmp_eq_u32_e32 vcc, 0, v7
	v_lshl_or_b32 v3, v8, 3, v4
	v_and_or_b32 v2, v2, 7, v3
	s_and_b64 s[0:1], vcc, s[0:1]
	v_cndmask_b32_e64 v2, v2, 0, s[0:1]
.LBB5_98:                               ;   in Loop: Header=BB5_6 Depth=1
	s_or_b64 exec, exec, s[28:29]
                                        ; implicit-def: $vgpr4
.LBB5_99:                               ;   in Loop: Header=BB5_6 Depth=1
	s_andn2_saveexec_b64 s[0:1], s[26:27]
	s_cbranch_execz .LBB5_4
; %bb.100:                              ;   in Loop: Header=BB5_6 Depth=1
	v_or_b32_sdwa v2, v4, s42 dst_sel:DWORD dst_unused:UNUSED_PAD src0_sel:BYTE_3 src1_sel:DWORD
	s_branch .LBB5_4
.LBB5_101:
	s_or_b64 exec, exec, s[4:5]
	s_sub_i32 s0, 8, s21
	s_cmp_gt_i32 s20, s0
	s_cbranch_scc0 .LBB5_124
; %bb.102:
	v_add_u32_e32 v0, s0, v0
	v_cmp_gt_i32_e32 vcc, s20, v0
	s_and_saveexec_b64 s[0:1], vcc
	s_cbranch_execz .LBB5_124
; %bb.103:
	v_mov_b32_e32 v1, 0
	s_load_dword s0, s[2:3], 0xc
	s_mov_b32 s21, 0
	v_add_u32_e32 v2, 1, v0
	v_mov_b32_e32 v3, v1
	v_cmp_lt_u64_e32 vcc, s[20:21], v[2:3]
	v_mov_b32_e32 v4, s20
	v_cndmask_b32_e32 v2, v4, v2, vcc
	v_sub_co_u32_e32 v2, vcc, v2, v0
	s_waitcnt lgkmcnt(0)
	s_and_b32 s33, s0, 0xffff
	v_subb_co_u32_e64 v3, s[0:1], 0, 0, vcc
	v_cmp_gt_u64_e32 vcc, 2, v[2:3]
	s_cmp_lg_u32 s33, 1
	s_cselect_b64 s[0:1], -1, 0
	s_or_b64 s[4:5], vcc, s[0:1]
	s_mov_b64 s[24:25], 0
	v_mov_b32_e32 v5, v3
                                        ; implicit-def: $sgpr2_sgpr3
                                        ; implicit-def: $sgpr0_sgpr1
	s_and_saveexec_b64 s[8:9], s[4:5]
	s_xor_b64 s[4:5], exec, s[8:9]
	s_cbranch_execz .LBB5_105
; %bb.104:
	s_lshl_b64 s[0:1], s[6:7], 2
	s_or_b32 s0, s0, 2
	s_mul_i32 s2, s0, s31
	s_mul_hi_u32 s3, s0, s30
	s_add_i32 s2, s3, s2
	s_mul_i32 s1, s1, s30
	s_mov_b64 s[24:25], exec
	s_add_i32 s3, s2, s1
	s_mul_i32 s2, s0, s30
	s_lshl_b64 s[0:1], s[22:23], 2
                                        ; implicit-def: $vgpr2_vgpr3
                                        ; implicit-def: $vgpr5
.LBB5_105:
	s_or_saveexec_b64 s[26:27], s[4:5]
	v_mov_b32_e32 v7, s3
	v_mov_b32_e32 v9, s1
	;; [unrolled: 1-line block ×4, first 2 shown]
	s_xor_b64 exec, exec, s[26:27]
	s_cbranch_execz .LBB5_109
; %bb.106:
	s_add_u32 s0, s16, s22
	s_addc_u32 s1, s17, s23
	v_mov_b32_e32 v7, s1
	v_add_co_u32_e32 v6, vcc, s0, v0
	s_lshl_b64 s[0:1], s[6:7], 2
	s_or_b32 s0, s0, 2
	s_mul_i32 s2, s0, s31
	s_mul_hi_u32 s3, s0, s30
	s_add_i32 s2, s3, s2
	s_mul_i32 s1, s1, s30
	s_add_i32 s29, s2, s1
	s_mul_i32 s28, s0, s30
	v_lshlrev_b64 v[10:11], 1, v[0:1]
	s_add_u32 s0, s18, s28
	v_addc_co_u32_e32 v7, vcc, 0, v7, vcc
	s_addc_u32 s1, s19, s29
	s_lshl_b64 s[30:31], s[22:23], 2
	v_mov_b32_e32 v1, s1
	v_add_co_u32_e32 v8, vcc, s0, v10
	s_add_u32 s0, s18, s30
	v_addc_co_u32_e32 v9, vcc, v1, v11, vcc
	s_addc_u32 s1, s19, s31
	v_and_b32_e32 v4, -2, v2
	v_mov_b32_e32 v1, s1
	v_add_co_u32_e32 v10, vcc, s0, v10
	v_mov_b32_e32 v15, v5
	v_addc_co_u32_e32 v11, vcc, v1, v11, vcc
	s_mov_b64 s[34:35], 0
	s_movk_i32 s36, 0x7fff
	v_mov_b32_e32 v1, 0x7fc00000
	s_mov_b32 s37, 0x3fb8aa3b
	s_mov_b32 s38, 0xc2ce8ed0
	;; [unrolled: 1-line block ×4, first 2 shown]
	v_mov_b32_e32 v18, 0x7f800000
	s_movk_i32 s41, 0x80
	s_mov_b32 s42, 0x43700001
	s_movk_i32 s43, 0x78
	v_mov_b32_e32 v19, 0x77
	v_mov_b32_e32 v13, 0
	s_movk_i32 s44, 0xff89
	v_mov_b32_e32 v21, 0xffffff8a
	s_movk_i32 s45, 0x7f
	v_mov_b32_e32 v22, 0xffffff80
	v_mov_b32_e32 v23, 1
	;; [unrolled: 1-line block ×3, first 2 shown]
.LBB5_107:                              ; =>This Inner Loop Header: Depth=1
	global_load_dword v12, v[10:11], off
	global_load_dword v32, v[8:9], off
	s_waitcnt vmcnt(1)
	v_lshlrev_b32_e32 v16, 16, v12
	v_xor_b32_e32 v17, 0x80000000, v16
	v_and_b32_sdwa v24, v17, v23 dst_sel:DWORD dst_unused:UNUSED_PAD src0_sel:WORD_1 src1_sel:DWORD
	v_add3_u32 v17, v17, v24, s36
	v_cmp_o_f32_e32 vcc, v16, v16
	v_and_b32_e32 v17, 0xffff0000, v17
	v_cndmask_b32_e32 v17, v1, v17, vcc
	v_mul_f32_e32 v24, 0x3fb8aa3b, v17
	v_fma_f32 v25, v17, s37, -v24
	v_rndne_f32_e32 v26, v24
	v_cmp_ngt_f32_e32 vcc, s38, v17
	v_cmp_nlt_f32_e64 s[0:1], s39, v17
	v_fmac_f32_e32 v25, 0x32a5705f, v17
	v_sub_f32_e32 v17, v24, v26
	v_add_f32_e32 v17, v17, v25
	v_cvt_i32_f32_e32 v24, v26
	v_exp_f32_e32 v17, v17
	v_and_b32_e32 v12, 0xffff0000, v12
	v_ldexp_f32 v17, v17, v24
	v_cndmask_b32_e32 v17, 0, v17, vcc
	v_cndmask_b32_e64 v17, v18, v17, s[0:1]
	v_add_f32_e32 v17, 1.0, v17
	v_div_scale_f32 v25, s[0:1], v17, v17, v16
	v_div_scale_f32 v26, vcc, v16, v17, v16
	v_rcp_f32_e32 v24, v25
	v_fma_f32 v27, -v25, v24, 1.0
	v_fmac_f32_e32 v24, v27, v24
	v_mul_f32_e32 v27, v26, v24
	v_fma_f32 v28, -v25, v27, v26
	v_fmac_f32_e32 v27, v28, v24
	v_fma_f32 v25, -v25, v27, v26
	v_div_fmas_f32 v24, v25, v24, v27
	s_waitcnt vmcnt(0)
	v_lshlrev_b32_e32 v26, 16, v32
	v_div_fixup_f32 v16, v24, v17, v16
	v_and_b32_sdwa v17, v16, v23 dst_sel:DWORD dst_unused:UNUSED_PAD src0_sel:WORD_1 src1_sel:DWORD
	v_cmp_o_f32_e32 vcc, v16, v16
	v_add3_u32 v16, v16, v17, s36
	v_and_b32_e32 v16, 0xffff0000, v16
	v_cndmask_b32_e32 v16, v1, v16, vcc
	v_mul_f32_e32 v16, v16, v26
	v_and_b32_sdwa v17, v16, v23 dst_sel:DWORD dst_unused:UNUSED_PAD src0_sel:WORD_1 src1_sel:DWORD
	v_cmp_o_f32_e32 vcc, v16, v16
	v_add3_u32 v16, v16, v17, s36
	v_and_b32_e32 v16, 0xffff0000, v16
	v_cndmask_b32_e32 v16, v1, v16, vcc
	v_mul_f32_e32 v16, v20, v16
	v_min_f32_e32 v16, 0x43600000, v16
	v_max_f32_e32 v24, 0xc3600000, v16
	v_lshrrev_b32_e32 v28, 23, v24
	v_sub_u32_sdwa v17, s43, v28 clamp dst_sel:DWORD dst_unused:UNUSED_PAD src0_sel:DWORD src1_sel:BYTE_0
	v_cmp_eq_u32_sdwa s[0:1], v28, v13 src0_sel:BYTE_0 src1_sel:DWORD
	v_and_b32_e32 v16, 0x7fffff, v24
	v_cndmask_b32_e64 v29, v17, v19, s[0:1]
	v_or_b32_e32 v25, 0x800000, v16
	v_add_u32_e32 v17, 20, v29
	v_cndmask_b32_e64 v16, v25, v16, s[0:1]
	v_lshlrev_b64 v[25:26], v17, -1
	v_add_u32_e32 v17, 19, v29
	v_lshlrev_b64 v[30:31], v17, 1
	v_bfi_b32 v26, v26, 0, 0
	v_bfi_b32 v25, v25, 0, v16
	v_xor_b32_e32 v17, 0x80000000, v12
	v_cmp_eq_u64_e64 s[2:3], v[25:26], v[30:31]
	v_and_b32_sdwa v25, v17, v23 dst_sel:DWORD dst_unused:UNUSED_PAD src0_sel:WORD_1 src1_sel:DWORD
	v_add3_u32 v17, v17, v25, s36
	v_cmp_o_f32_e32 vcc, v12, v12
	v_and_b32_e32 v17, 0xffff0000, v17
	v_cndmask_b32_e32 v17, v1, v17, vcc
	v_mul_f32_e32 v25, 0x3fb8aa3b, v17
	v_fma_f32 v26, v17, s37, -v25
	v_cmp_ngt_f32_e32 vcc, s38, v17
	v_cmp_nlt_f32_e64 s[4:5], s39, v17
	v_fmac_f32_e32 v26, 0x32a5705f, v17
	v_rndne_f32_e32 v17, v25
	v_sub_f32_e32 v25, v25, v17
	v_add_f32_e32 v25, v25, v26
	v_cvt_i32_f32_e32 v17, v17
	v_exp_f32_e32 v25, v25
	v_ldexp_f32 v17, v25, v17
	v_cndmask_b32_e32 v17, 0, v17, vcc
	v_cndmask_b32_e64 v17, v18, v17, s[4:5]
	v_add_f32_e32 v17, 1.0, v17
	v_div_scale_f32 v25, s[4:5], v17, v17, v12
	v_rcp_f32_e32 v26, v25
	v_fma_f32 v27, -v25, v26, 1.0
	v_fmac_f32_e32 v26, v27, v26
	v_div_scale_f32 v27, vcc, v12, v17, v12
	v_mul_f32_e32 v30, v27, v26
	v_fma_f32 v31, -v25, v30, v27
	v_fmac_f32_e32 v30, v31, v26
	v_fma_f32 v25, -v25, v30, v27
	v_div_fmas_f32 v25, v25, v26, v30
	v_div_fixup_f32 v12, v25, v17, v12
	v_and_b32_sdwa v25, v12, v23 dst_sel:DWORD dst_unused:UNUSED_PAD src0_sel:WORD_1 src1_sel:DWORD
	v_cmp_o_f32_e32 vcc, v12, v12
	v_add3_u32 v12, v12, v25, s36
	v_and_b32_e32 v12, 0xffff0000, v12
	v_and_b32_e32 v17, 0xffff0000, v32
	v_cndmask_b32_e32 v12, v1, v12, vcc
	v_mul_f32_e32 v12, v12, v17
	v_and_b32_sdwa v17, v12, v23 dst_sel:DWORD dst_unused:UNUSED_PAD src0_sel:WORD_1 src1_sel:DWORD
	v_cmp_o_f32_e32 vcc, v12, v12
	v_add3_u32 v12, v12, v17, s36
	v_and_b32_e32 v12, 0xffff0000, v12
	v_cndmask_b32_e32 v12, v1, v12, vcc
	v_mul_f32_e32 v12, v20, v12
	v_min_f32_e32 v12, 0x43600000, v12
	v_max_f32_e32 v25, 0xc3600000, v12
	v_and_b32_e32 v12, 0x7fffff, v25
	v_lshrrev_b32_e32 v26, 23, v25
	v_cmp_eq_u32_sdwa vcc, v26, v13 src0_sel:BYTE_0 src1_sel:DWORD
	v_or_b32_e32 v17, 0x800000, v12
	v_cndmask_b32_e32 v12, v17, v12, vcc
	v_sub_u32_sdwa v17, s43, v26 clamp dst_sel:DWORD dst_unused:UNUSED_PAD src0_sel:DWORD src1_sel:BYTE_0
	v_cndmask_b32_e32 v27, v17, v19, vcc
	v_add_u32_e32 v17, 20, v27
	v_lshlrev_b64 v[30:31], v17, -1
	v_add_u32_e32 v17, 19, v27
	v_lshlrev_b64 v[32:33], v17, 1
	v_mov_b32_e32 v17, v13
	v_lshrrev_b64 v[16:17], v29, v[16:17]
	v_bfi_b32 v31, v31, 0, 0
	v_bfi_b32 v30, v30, 0, v12
	v_cmp_eq_u64_e64 s[8:9], v[30:31], v[32:33]
	v_lshrrev_b64 v[30:31], v27, v[12:13]
	v_and_b32_e32 v12, 0x100000, v16
	v_cmp_eq_u64_e64 s[4:5], 0, v[12:13]
	v_add_u32_sdwa v17, v28, s44 dst_sel:DWORD dst_unused:UNUSED_PAD src0_sel:BYTE_0 src1_sel:DWORD
	s_and_b64 s[2:3], s[4:5], s[2:3]
	v_subbrev_co_u32_e64 v12, s[2:3], 0, v16, s[2:3]
	v_and_b32_e32 v12, 0xfffff, v12
	v_add_u32_e32 v12, v12, v16
	v_lshrrev_b32_e32 v16, 23, v16
	v_cndmask_b32_e64 v17, v17, v21, s[0:1]
	v_add3_u32 v28, v17, v29, v16
	v_mov_b32_e32 v17, v13
	v_and_b32_e32 v16, 0x100000, v30
	v_cmp_eq_u64_e64 s[10:11], 0, v[16:17]
	v_and_b32_e32 v16, 0x7f800000, v24
	v_cmp_ne_u32_e64 s[0:1], s40, v16
	v_and_b32_e32 v16, 0x7fffffff, v24
	v_cmp_gt_u32_e64 s[6:7], s42, v16
	v_and_b32_e32 v16, 0x7fffffff, v25
	v_cmp_gt_u32_e64 s[2:3], s42, v16
	v_and_b32_e32 v16, 0x7f800000, v25
	s_and_b64 s[8:9], s[10:11], s[8:9]
	v_cmp_ne_u32_e64 s[4:5], s40, v16
	v_subbrev_co_u32_e64 v16, s[8:9], 0, v30, s[8:9]
	v_and_b32_e32 v16, 0xfffff, v16
	v_add_u32_sdwa v26, v26, s44 dst_sel:DWORD dst_unused:UNUSED_PAD src0_sel:BYTE_0 src1_sel:DWORD
	v_lshrrev_b32_e32 v29, 23, v30
	v_add_u32_e32 v16, v16, v30
	v_cndmask_b32_e32 v26, v26, v21, vcc
	v_add3_u32 v29, v26, v27, v29
	v_mov_b32_e32 v27, v13
	v_and_b32_e32 v26, 0x1000000, v16
	v_cmp_eq_u64_e32 vcc, 0, v[26:27]
	v_and_b32_e32 v26, 0x1000000, v12
	v_cmp_ne_u32_e64 s[8:9], 0, v25
	v_cmp_eq_u64_e64 s[10:11], 0, v[26:27]
	v_add_u32_e32 v26, -1, v29
	s_and_b64 s[14:15], s[2:3], s[8:9]
	v_cmp_eq_u32_e64 s[12:13], 0, v26
	s_and_b64 s[12:13], s[14:15], s[12:13]
	v_bfe_u32 v27, v16, 24, 1
	v_cndmask_b32_e64 v27, v27, 0, s[12:13]
	v_lshrrev_b32_e32 v30, 23, v16
	v_lshrrev_b64 v[16:17], v27, v[16:17]
	v_add_u32_e32 v17, -1, v28
	v_cmp_eq_u32_e64 s[14:15], 0, v17
	v_cndmask_b32_e64 v17, v28, v17, s[10:11]
	v_cmp_ne_u32_e64 s[10:11], 0, v24
	s_and_b64 s[46:47], s[6:7], s[10:11]
	v_cndmask_b32_e32 v26, v29, v26, vcc
	v_and_b32_e32 v28, 1, v30
	s_and_b64 s[14:15], s[46:47], s[14:15]
	v_bfe_u32 v27, v12, 24, 1
	v_cndmask_b32_e64 v26, v26, v28, s[12:13]
	v_lshrrev_b32_e32 v28, 23, v12
	v_and_b32_e32 v28, 1, v28
	v_cndmask_b32_e64 v29, v27, 0, s[14:15]
	v_cndmask_b32_e64 v27, v17, v28, s[14:15]
	v_lshrrev_b64 v[28:29], v29, v[12:13]
	v_add_co_u32_e32 v14, vcc, -2, v14
	v_add_co_u32_e64 v8, s[12:13], 4, v8
	v_lshrrev_b32_e32 v12, 20, v16
	v_add_co_u32_e64 v10, s[14:15], 4, v10
	v_addc_co_u32_e32 v15, vcc, -1, v15, vcc
	v_addc_co_u32_e64 v9, vcc, 0, v9, s[12:13]
	v_cmp_gt_i32_e64 s[12:13], 16, v26
	v_lshrrev_b32_e32 v29, 20, v28
	v_addc_co_u32_e64 v11, vcc, 0, v11, s[14:15]
	v_cndmask_b32_e64 v12, 7, v12, s[12:13]
	v_and_b32_sdwa v28, v24, s41 dst_sel:DWORD dst_unused:UNUSED_PAD src0_sel:BYTE_3 src1_sel:DWORD
	v_cmp_eq_u32_e64 s[12:13], 0, v24
	v_or_b32_sdwa v24, v24, s45 dst_sel:DWORD dst_unused:UNUSED_PAD src0_sel:BYTE_3 src1_sel:DWORD
	v_cmp_gt_i32_e64 s[14:15], 16, v27
	v_cndmask_b32_e64 v16, 7, v29, s[14:15]
	v_and_b32_sdwa v29, v25, s41 dst_sel:DWORD dst_unused:UNUSED_PAD src0_sel:BYTE_3 src1_sel:DWORD
	v_cmp_eq_u32_e64 s[14:15], 0, v25
	v_or_b32_sdwa v25, v25, s45 dst_sel:DWORD dst_unused:UNUSED_PAD src0_sel:BYTE_3 src1_sel:DWORD
	v_cndmask_b32_e64 v24, v22, v24, s[0:1]
	s_and_b64 s[0:1], s[0:1], s[6:7]
	v_cndmask_b32_e64 v25, v22, v25, s[4:5]
	s_and_b64 s[2:3], s[4:5], s[2:3]
	s_and_b64 s[4:5], s[0:1], s[12:13]
	v_cndmask_b32_e64 v24, v24, 0, s[4:5]
	s_and_b64 s[4:5], s[2:3], s[14:15]
	v_cmp_eq_u32_e64 s[6:7], 0, v26
	v_min_i32_e32 v26, 15, v26
	v_mov_b32_e32 v17, v13
	s_and_b64 s[0:1], s[0:1], s[10:11]
	v_cndmask_b32_e64 v25, v25, 0, s[4:5]
	v_cmp_eq_u32_e64 s[4:5], 0, v27
	v_min_i32_e32 v27, 15, v27
	v_lshlrev_b32_e32 v26, 3, v26
	v_cmp_eq_u64_e64 s[10:11], 0, v[12:13]
	s_and_b64 s[2:3], s[2:3], s[8:9]
	v_lshlrev_b32_e32 v27, 3, v27
	v_or_b32_e32 v26, v26, v29
	v_cmp_eq_u64_e64 s[8:9], 0, v[16:17]
	v_or_b32_e32 v27, v27, v28
	v_and_or_b32 v12, v12, 7, v26
	s_and_b64 s[6:7], s[6:7], s[10:11]
	v_and_or_b32 v16, v16, 7, v27
	s_and_b64 s[4:5], s[4:5], s[8:9]
	v_cndmask_b32_e64 v12, v12, 0, s[6:7]
	v_cndmask_b32_e64 v16, v16, 0, s[4:5]
	;; [unrolled: 1-line block ×3, first 2 shown]
	v_cmp_eq_u64_e32 vcc, 0, v[14:15]
	v_cndmask_b32_e64 v16, v24, v16, s[0:1]
	v_lshlrev_b16_e32 v12, 8, v12
	v_or_b32_sdwa v12, v16, v12 dst_sel:DWORD dst_unused:UNUSED_PAD src0_sel:BYTE_0 src1_sel:DWORD
	s_or_b64 s[34:35], vcc, s[34:35]
	global_store_short v[6:7], v12, off
	v_add_co_u32_e32 v6, vcc, 2, v6
	v_addc_co_u32_e32 v7, vcc, 0, v7, vcc
	s_andn2_b64 exec, exec, s[34:35]
	s_cbranch_execnz .LBB5_107
; %bb.108:
	s_or_b64 exec, exec, s[34:35]
	v_add_co_u32_e32 v0, vcc, v4, v0
	v_addc_co_u32_e32 v1, vcc, 0, v5, vcc
	v_cmp_ne_u64_e32 vcc, v[2:3], v[4:5]
	v_mov_b32_e32 v6, s28
	v_mov_b32_e32 v8, s30
	s_andn2_b64 s[0:1], s[24:25], exec
	s_and_b64 s[2:3], vcc, exec
	v_mov_b32_e32 v7, s29
	v_mov_b32_e32 v9, s31
	s_or_b64 s[24:25], s[0:1], s[2:3]
.LBB5_109:
	s_or_b64 exec, exec, s[26:27]
	s_and_b64 exec, exec, s[24:25]
	s_cbranch_execz .LBB5_124
; %bb.110:
	v_lshlrev_b64 v[2:3], 1, v[0:1]
	s_add_u32 s14, s16, s22
	v_mov_b32_e32 v4, s19
	v_add_co_u32_e32 v10, vcc, s18, v2
	s_addc_u32 s15, s17, s23
	v_addc_co_u32_e32 v11, vcc, v4, v3, vcc
	s_lshl_b32 s16, s33, 1
	s_mov_b64 s[2:3], 0
	s_movk_i32 s17, 0x7fff
	v_mov_b32_e32 v12, 0x7fc00000
	s_mov_b32 s18, 0x3fb8aa3b
	s_mov_b32 s19, 0xc2ce8ed0
	;; [unrolled: 1-line block ×3, first 2 shown]
	v_mov_b32_e32 v13, 0x7f800000
	v_mov_b32_e32 v3, 0
	s_mov_b64 s[4:5], 0x7f800000
	s_mov_b64 s[6:7], 0x43700001
	s_movk_i32 s23, 0x78
	s_movk_i32 s24, 0x80
	;; [unrolled: 1-line block ×3, first 2 shown]
	v_mov_b32_e32 v14, 0x77
	v_mov_b32_e32 v15, 0xffffff8a
	s_branch .LBB5_113
.LBB5_111:                              ;   in Loop: Header=BB5_113 Depth=1
	s_or_b64 exec, exec, s[0:1]
.LBB5_112:                              ;   in Loop: Header=BB5_113 Depth=1
	s_or_b64 exec, exec, s[8:9]
	v_mov_b32_e32 v5, s15
	v_add_co_u32_e32 v4, vcc, s14, v0
	v_addc_co_u32_e32 v5, vcc, v5, v1, vcc
	v_add_co_u32_e32 v0, vcc, s33, v0
	v_addc_co_u32_e32 v1, vcc, 0, v1, vcc
	v_cmp_le_u64_e32 vcc, s[20:21], v[0:1]
	global_store_byte v[4:5], v2, off
	s_or_b64 s[2:3], vcc, s[2:3]
	v_add_co_u32_e32 v10, vcc, s16, v10
	v_addc_co_u32_e32 v11, vcc, 0, v11, vcc
	s_andn2_b64 exec, exec, s[2:3]
	s_cbranch_execz .LBB5_124
.LBB5_113:                              ; =>This Inner Loop Header: Depth=1
	v_add_co_u32_e32 v4, vcc, v10, v8
	v_addc_co_u32_e32 v5, vcc, v11, v9, vcc
	global_load_ushort v2, v[4:5], off
	v_add_co_u32_e32 v4, vcc, v10, v6
	v_addc_co_u32_e32 v5, vcc, v11, v7, vcc
	global_load_ushort v4, v[4:5], off
	s_waitcnt vmcnt(1)
	v_lshlrev_b32_e32 v2, 16, v2
	v_xor_b32_e32 v5, 0x80000000, v2
	v_bfe_u32 v16, v5, 16, 1
	v_add3_u32 v5, v5, v16, s17
	v_and_b32_e32 v5, 0xffff0000, v5
	v_cmp_o_f32_e32 vcc, v2, v2
	v_cndmask_b32_e32 v5, v12, v5, vcc
	v_mul_f32_e32 v16, 0x3fb8aa3b, v5
	v_fma_f32 v17, v5, s18, -v16
	v_rndne_f32_e32 v18, v16
	v_fmac_f32_e32 v17, 0x32a5705f, v5
	v_sub_f32_e32 v16, v16, v18
	v_add_f32_e32 v16, v16, v17
	v_cvt_i32_f32_e32 v18, v18
	v_exp_f32_e32 v16, v16
	v_cmp_ngt_f32_e32 vcc, s19, v5
	s_waitcnt vmcnt(0)
	v_lshlrev_b32_e32 v4, 16, v4
	v_ldexp_f32 v16, v16, v18
	v_cndmask_b32_e32 v16, 0, v16, vcc
	v_cmp_nlt_f32_e32 vcc, s22, v5
	v_cndmask_b32_e32 v5, v13, v16, vcc
	v_add_f32_e32 v5, 1.0, v5
	v_div_scale_f32 v16, s[0:1], v5, v5, v2
	v_div_scale_f32 v17, vcc, v2, v5, v2
	v_rcp_f32_e32 v18, v16
	v_fma_f32 v19, -v16, v18, 1.0
	v_fmac_f32_e32 v18, v19, v18
	v_mul_f32_e32 v19, v17, v18
	v_fma_f32 v21, -v16, v19, v17
	v_fmac_f32_e32 v19, v21, v18
	v_fma_f32 v16, -v16, v19, v17
	v_div_fmas_f32 v16, v16, v18, v19
	v_div_fixup_f32 v2, v16, v5, v2
	v_bfe_u32 v5, v2, 16, 1
	v_add3_u32 v5, v2, v5, s17
	v_and_b32_e32 v5, 0xffff0000, v5
	v_cmp_o_f32_e32 vcc, v2, v2
	v_cndmask_b32_e32 v2, v12, v5, vcc
	v_mul_f32_e32 v2, v2, v4
	v_bfe_u32 v4, v2, 16, 1
	v_add3_u32 v4, v2, v4, s17
	v_and_b32_e32 v4, 0xffff0000, v4
	v_cmp_o_f32_e32 vcc, v2, v2
	v_cndmask_b32_e32 v2, v12, v4, vcc
	v_mul_f32_e32 v2, v20, v2
	v_min_f32_e32 v2, 0x43600000, v2
	v_max_f32_e32 v16, 0xc3600000, v2
	v_and_b32_e32 v2, 0x7f800000, v16
	v_cmp_ne_u64_e32 vcc, s[4:5], v[2:3]
	v_mov_b32_e32 v2, 0x80
	s_and_saveexec_b64 s[8:9], vcc
	s_cbranch_execz .LBB5_112
; %bb.114:                              ;   in Loop: Header=BB5_113 Depth=1
	v_and_b32_e32 v2, 0x7fffffff, v16
	v_cmp_gt_u64_e32 vcc, s[6:7], v[2:3]
                                        ; implicit-def: $vgpr2
	s_and_saveexec_b64 s[0:1], vcc
	s_xor_b64 s[10:11], exec, s[0:1]
	s_cbranch_execz .LBB5_122
; %bb.115:                              ;   in Loop: Header=BB5_113 Depth=1
	v_cmp_ne_u32_e32 vcc, 0, v16
	v_mov_b32_e32 v2, 0
	s_and_saveexec_b64 s[12:13], vcc
	s_cbranch_execz .LBB5_121
; %bb.116:                              ;   in Loop: Header=BB5_113 Depth=1
	v_bfe_u32 v19, v16, 23, 8
	v_sub_u32_e64 v4, s23, v19 clamp
	v_cmp_eq_u32_e32 vcc, 0, v19
	v_and_b32_e32 v2, 0x7fffff, v16
	v_cndmask_b32_e32 v21, v4, v14, vcc
	v_or_b32_e32 v17, 0x800000, v2
	v_add_u32_e32 v4, 20, v21
	v_lshlrev_b64 v[4:5], v4, -1
	v_cndmask_b32_e32 v2, v17, v2, vcc
	v_add_u32_e32 v17, 19, v21
	v_lshlrev_b64 v[17:18], v17, 1
	v_bfi_b32 v5, v5, 0, 0
	v_bfi_b32 v4, v4, 0, v2
	v_cmp_eq_u64_e64 s[0:1], v[4:5], v[17:18]
	v_lshrrev_b64 v[4:5], v21, v[2:3]
	v_add_u32_e32 v2, 0xffffff89, v19
	v_cndmask_b32_e32 v2, v2, v15, vcc
	v_lshrrev_b32_e32 v5, 23, v4
	v_add3_u32 v18, v2, v21, v5
	v_and_b32_e32 v2, 0x100000, v4
	v_cmp_eq_u64_e32 vcc, 0, v[2:3]
	v_add_u32_e32 v19, -1, v18
	s_and_b64 vcc, vcc, s[0:1]
	v_subbrev_co_u32_e32 v2, vcc, 0, v4, vcc
	v_and_b32_e32 v2, 0xfffff, v2
	v_add_u32_e32 v2, v2, v4
	v_cmp_ne_u32_e32 vcc, 0, v19
                                        ; implicit-def: $vgpr4_vgpr5
                                        ; implicit-def: $vgpr17
	s_and_saveexec_b64 s[0:1], vcc
	s_xor_b64 s[0:1], exec, s[0:1]
; %bb.117:                              ;   in Loop: Header=BB5_113 Depth=1
	v_and_b32_e32 v21, 0x1000000, v2
	v_mov_b32_e32 v22, v3
	v_cmp_eq_u64_e32 vcc, 0, v[21:22]
	v_bfe_u32 v4, v2, 24, 1
	v_lshrrev_b64 v[4:5], v4, v[2:3]
	v_cndmask_b32_e32 v17, v18, v19, vcc
; %bb.118:                              ;   in Loop: Header=BB5_113 Depth=1
	s_andn2_saveexec_b64 s[0:1], s[0:1]
; %bb.119:                              ;   in Loop: Header=BB5_113 Depth=1
	v_mov_b32_e32 v5, v3
	v_bfe_u32 v17, v2, 23, 1
	v_mov_b32_e32 v4, v2
; %bb.120:                              ;   in Loop: Header=BB5_113 Depth=1
	s_or_b64 exec, exec, s[0:1]
	v_lshrrev_b64 v[4:5], 20, v[4:5]
	v_cmp_gt_i32_e32 vcc, 16, v17
	v_cndmask_b32_e32 v5, 0, v5, vcc
	v_cndmask_b32_e32 v4, 7, v4, vcc
	v_and_b32_sdwa v2, v16, s24 dst_sel:DWORD dst_unused:UNUSED_PAD src0_sel:BYTE_3 src1_sel:DWORD
	v_min_i32_e32 v16, 15, v17
	v_cmp_eq_u64_e64 s[0:1], 0, v[4:5]
	v_cmp_eq_u32_e32 vcc, 0, v17
	v_lshl_or_b32 v2, v16, 3, v2
	v_and_or_b32 v2, v4, 7, v2
	s_and_b64 s[0:1], vcc, s[0:1]
	v_cndmask_b32_e64 v2, v2, 0, s[0:1]
.LBB5_121:                              ;   in Loop: Header=BB5_113 Depth=1
	s_or_b64 exec, exec, s[12:13]
                                        ; implicit-def: $vgpr16
.LBB5_122:                              ;   in Loop: Header=BB5_113 Depth=1
	s_andn2_saveexec_b64 s[0:1], s[10:11]
	s_cbranch_execz .LBB5_111
; %bb.123:                              ;   in Loop: Header=BB5_113 Depth=1
	v_or_b32_sdwa v2, v16, s25 dst_sel:DWORD dst_unused:UNUSED_PAD src0_sel:BYTE_3 src1_sel:DWORD
	s_branch .LBB5_111
.LBB5_124:
	s_endpgm
	.section	.rodata,"a",@progbits
	.p2align	6, 0x0
	.amdhsa_kernel _ZN4vllm24act_and_mul_quant_kernelIN3c108BFloat16ETnPFT_RKS3_EXadL_ZNS_11silu_kernelIS2_EES3_S5_EENS1_15Float8_e4m3fnuzEEEvPT1_PS4_PKfi
		.amdhsa_group_segment_fixed_size 0
		.amdhsa_private_segment_fixed_size 0
		.amdhsa_kernarg_size 288
		.amdhsa_user_sgpr_count 6
		.amdhsa_user_sgpr_private_segment_buffer 1
		.amdhsa_user_sgpr_dispatch_ptr 0
		.amdhsa_user_sgpr_queue_ptr 0
		.amdhsa_user_sgpr_kernarg_segment_ptr 1
		.amdhsa_user_sgpr_dispatch_id 0
		.amdhsa_user_sgpr_flat_scratch_init 0
		.amdhsa_user_sgpr_private_segment_size 0
		.amdhsa_uses_dynamic_stack 0
		.amdhsa_system_sgpr_private_segment_wavefront_offset 0
		.amdhsa_system_sgpr_workgroup_id_x 1
		.amdhsa_system_sgpr_workgroup_id_y 1
		.amdhsa_system_sgpr_workgroup_id_z 0
		.amdhsa_system_sgpr_workgroup_info 0
		.amdhsa_system_vgpr_workitem_id 0
		.amdhsa_next_free_vgpr 34
		.amdhsa_next_free_sgpr 48
		.amdhsa_reserve_vcc 1
		.amdhsa_reserve_flat_scratch 0
		.amdhsa_float_round_mode_32 0
		.amdhsa_float_round_mode_16_64 0
		.amdhsa_float_denorm_mode_32 3
		.amdhsa_float_denorm_mode_16_64 3
		.amdhsa_dx10_clamp 1
		.amdhsa_ieee_mode 1
		.amdhsa_fp16_overflow 0
		.amdhsa_exception_fp_ieee_invalid_op 0
		.amdhsa_exception_fp_denorm_src 0
		.amdhsa_exception_fp_ieee_div_zero 0
		.amdhsa_exception_fp_ieee_overflow 0
		.amdhsa_exception_fp_ieee_underflow 0
		.amdhsa_exception_fp_ieee_inexact 0
		.amdhsa_exception_int_div_zero 0
	.end_amdhsa_kernel
	.section	.text._ZN4vllm24act_and_mul_quant_kernelIN3c108BFloat16ETnPFT_RKS3_EXadL_ZNS_11silu_kernelIS2_EES3_S5_EENS1_15Float8_e4m3fnuzEEEvPT1_PS4_PKfi,"axG",@progbits,_ZN4vllm24act_and_mul_quant_kernelIN3c108BFloat16ETnPFT_RKS3_EXadL_ZNS_11silu_kernelIS2_EES3_S5_EENS1_15Float8_e4m3fnuzEEEvPT1_PS4_PKfi,comdat
.Lfunc_end5:
	.size	_ZN4vllm24act_and_mul_quant_kernelIN3c108BFloat16ETnPFT_RKS3_EXadL_ZNS_11silu_kernelIS2_EES3_S5_EENS1_15Float8_e4m3fnuzEEEvPT1_PS4_PKfi, .Lfunc_end5-_ZN4vllm24act_and_mul_quant_kernelIN3c108BFloat16ETnPFT_RKS3_EXadL_ZNS_11silu_kernelIS2_EES3_S5_EENS1_15Float8_e4m3fnuzEEEvPT1_PS4_PKfi
                                        ; -- End function
	.set _ZN4vllm24act_and_mul_quant_kernelIN3c108BFloat16ETnPFT_RKS3_EXadL_ZNS_11silu_kernelIS2_EES3_S5_EENS1_15Float8_e4m3fnuzEEEvPT1_PS4_PKfi.num_vgpr, 34
	.set _ZN4vllm24act_and_mul_quant_kernelIN3c108BFloat16ETnPFT_RKS3_EXadL_ZNS_11silu_kernelIS2_EES3_S5_EENS1_15Float8_e4m3fnuzEEEvPT1_PS4_PKfi.num_agpr, 0
	.set _ZN4vllm24act_and_mul_quant_kernelIN3c108BFloat16ETnPFT_RKS3_EXadL_ZNS_11silu_kernelIS2_EES3_S5_EENS1_15Float8_e4m3fnuzEEEvPT1_PS4_PKfi.numbered_sgpr, 48
	.set _ZN4vllm24act_and_mul_quant_kernelIN3c108BFloat16ETnPFT_RKS3_EXadL_ZNS_11silu_kernelIS2_EES3_S5_EENS1_15Float8_e4m3fnuzEEEvPT1_PS4_PKfi.num_named_barrier, 0
	.set _ZN4vllm24act_and_mul_quant_kernelIN3c108BFloat16ETnPFT_RKS3_EXadL_ZNS_11silu_kernelIS2_EES3_S5_EENS1_15Float8_e4m3fnuzEEEvPT1_PS4_PKfi.private_seg_size, 0
	.set _ZN4vllm24act_and_mul_quant_kernelIN3c108BFloat16ETnPFT_RKS3_EXadL_ZNS_11silu_kernelIS2_EES3_S5_EENS1_15Float8_e4m3fnuzEEEvPT1_PS4_PKfi.uses_vcc, 1
	.set _ZN4vllm24act_and_mul_quant_kernelIN3c108BFloat16ETnPFT_RKS3_EXadL_ZNS_11silu_kernelIS2_EES3_S5_EENS1_15Float8_e4m3fnuzEEEvPT1_PS4_PKfi.uses_flat_scratch, 0
	.set _ZN4vllm24act_and_mul_quant_kernelIN3c108BFloat16ETnPFT_RKS3_EXadL_ZNS_11silu_kernelIS2_EES3_S5_EENS1_15Float8_e4m3fnuzEEEvPT1_PS4_PKfi.has_dyn_sized_stack, 0
	.set _ZN4vllm24act_and_mul_quant_kernelIN3c108BFloat16ETnPFT_RKS3_EXadL_ZNS_11silu_kernelIS2_EES3_S5_EENS1_15Float8_e4m3fnuzEEEvPT1_PS4_PKfi.has_recursion, 0
	.set _ZN4vllm24act_and_mul_quant_kernelIN3c108BFloat16ETnPFT_RKS3_EXadL_ZNS_11silu_kernelIS2_EES3_S5_EENS1_15Float8_e4m3fnuzEEEvPT1_PS4_PKfi.has_indirect_call, 0
	.section	.AMDGPU.csdata,"",@progbits
; Kernel info:
; codeLenInByte = 9312
; TotalNumSgprs: 52
; NumVgprs: 34
; ScratchSize: 0
; MemoryBound: 0
; FloatMode: 240
; IeeeMode: 1
; LDSByteSize: 0 bytes/workgroup (compile time only)
; SGPRBlocks: 6
; VGPRBlocks: 8
; NumSGPRsForWavesPerEU: 52
; NumVGPRsForWavesPerEU: 34
; Occupancy: 7
; WaveLimiterHint : 0
; COMPUTE_PGM_RSRC2:SCRATCH_EN: 0
; COMPUTE_PGM_RSRC2:USER_SGPR: 6
; COMPUTE_PGM_RSRC2:TRAP_HANDLER: 0
; COMPUTE_PGM_RSRC2:TGID_X_EN: 1
; COMPUTE_PGM_RSRC2:TGID_Y_EN: 1
; COMPUTE_PGM_RSRC2:TGID_Z_EN: 0
; COMPUTE_PGM_RSRC2:TIDIG_COMP_CNT: 0
	.section	.AMDGPU.gpr_maximums,"",@progbits
	.set amdgpu.max_num_vgpr, 0
	.set amdgpu.max_num_agpr, 0
	.set amdgpu.max_num_sgpr, 0
	.section	.AMDGPU.csdata,"",@progbits
	.type	__hip_cuid_f23efe429800d98e,@object ; @__hip_cuid_f23efe429800d98e
	.section	.bss,"aw",@nobits
	.globl	__hip_cuid_f23efe429800d98e
__hip_cuid_f23efe429800d98e:
	.byte	0                               ; 0x0
	.size	__hip_cuid_f23efe429800d98e, 1

	.ident	"AMD clang version 22.0.0git (https://github.com/RadeonOpenCompute/llvm-project roc-7.2.4 26084 f58b06dce1f9c15707c5f808fd002e18c2accf7e)"
	.section	".note.GNU-stack","",@progbits
	.addrsig
	.addrsig_sym __hip_cuid_f23efe429800d98e
	.amdgpu_metadata
---
amdhsa.kernels:
  - .args:
      - .actual_access:  write_only
        .address_space:  global
        .offset:         0
        .size:           8
        .value_kind:     global_buffer
      - .actual_access:  read_only
        .address_space:  global
        .offset:         8
        .size:           8
        .value_kind:     global_buffer
      - .address_space:  global
        .offset:         16
        .size:           8
        .value_kind:     global_buffer
      - .offset:         24
        .size:           4
        .value_kind:     by_value
      - .offset:         32
        .size:           4
        .value_kind:     hidden_block_count_x
      - .offset:         36
        .size:           4
        .value_kind:     hidden_block_count_y
      - .offset:         40
        .size:           4
        .value_kind:     hidden_block_count_z
      - .offset:         44
        .size:           2
        .value_kind:     hidden_group_size_x
      - .offset:         46
        .size:           2
        .value_kind:     hidden_group_size_y
      - .offset:         48
        .size:           2
        .value_kind:     hidden_group_size_z
      - .offset:         50
        .size:           2
        .value_kind:     hidden_remainder_x
      - .offset:         52
        .size:           2
        .value_kind:     hidden_remainder_y
      - .offset:         54
        .size:           2
        .value_kind:     hidden_remainder_z
      - .offset:         72
        .size:           8
        .value_kind:     hidden_global_offset_x
      - .offset:         80
        .size:           8
        .value_kind:     hidden_global_offset_y
      - .offset:         88
        .size:           8
        .value_kind:     hidden_global_offset_z
      - .offset:         96
        .size:           2
        .value_kind:     hidden_grid_dims
    .group_segment_fixed_size: 0
    .kernarg_segment_align: 8
    .kernarg_segment_size: 288
    .language:       OpenCL C
    .language_version:
      - 2
      - 0
    .max_flat_workgroup_size: 1024
    .name:           _ZN4vllm24act_and_mul_quant_kernelIfTnPFT_RKS1_EXadL_ZNS_11silu_kernelIfEES1_S3_EEN3c1013Float8_e4m3fnEEEvPT1_PS2_PKfi
    .private_segment_fixed_size: 0
    .sgpr_count:     52
    .sgpr_spill_count: 0
    .symbol:         _ZN4vllm24act_and_mul_quant_kernelIfTnPFT_RKS1_EXadL_ZNS_11silu_kernelIfEES1_S3_EEN3c1013Float8_e4m3fnEEEvPT1_PS2_PKfi.kd
    .uniform_work_group_size: 1
    .uses_dynamic_stack: false
    .vgpr_count:     29
    .vgpr_spill_count: 0
    .wavefront_size: 64
  - .args:
      - .actual_access:  write_only
        .address_space:  global
        .offset:         0
        .size:           8
        .value_kind:     global_buffer
      - .actual_access:  read_only
        .address_space:  global
        .offset:         8
        .size:           8
        .value_kind:     global_buffer
      - .address_space:  global
        .offset:         16
        .size:           8
        .value_kind:     global_buffer
      - .offset:         24
        .size:           4
        .value_kind:     by_value
      - .offset:         32
        .size:           4
        .value_kind:     hidden_block_count_x
      - .offset:         36
        .size:           4
        .value_kind:     hidden_block_count_y
      - .offset:         40
        .size:           4
        .value_kind:     hidden_block_count_z
      - .offset:         44
        .size:           2
        .value_kind:     hidden_group_size_x
      - .offset:         46
        .size:           2
        .value_kind:     hidden_group_size_y
      - .offset:         48
        .size:           2
        .value_kind:     hidden_group_size_z
      - .offset:         50
        .size:           2
        .value_kind:     hidden_remainder_x
      - .offset:         52
        .size:           2
        .value_kind:     hidden_remainder_y
      - .offset:         54
        .size:           2
        .value_kind:     hidden_remainder_z
      - .offset:         72
        .size:           8
        .value_kind:     hidden_global_offset_x
      - .offset:         80
        .size:           8
        .value_kind:     hidden_global_offset_y
      - .offset:         88
        .size:           8
        .value_kind:     hidden_global_offset_z
      - .offset:         96
        .size:           2
        .value_kind:     hidden_grid_dims
    .group_segment_fixed_size: 0
    .kernarg_segment_align: 8
    .kernarg_segment_size: 288
    .language:       OpenCL C
    .language_version:
      - 2
      - 0
    .max_flat_workgroup_size: 1024
    .name:           _ZN4vllm24act_and_mul_quant_kernelIfTnPFT_RKS1_EXadL_ZNS_11silu_kernelIfEES1_S3_EEN3c1015Float8_e4m3fnuzEEEvPT1_PS2_PKfi
    .private_segment_fixed_size: 0
    .sgpr_count:     49
    .sgpr_spill_count: 0
    .symbol:         _ZN4vllm24act_and_mul_quant_kernelIfTnPFT_RKS1_EXadL_ZNS_11silu_kernelIfEES1_S3_EEN3c1015Float8_e4m3fnuzEEEvPT1_PS2_PKfi.kd
    .uniform_work_group_size: 1
    .uses_dynamic_stack: false
    .vgpr_count:     30
    .vgpr_spill_count: 0
    .wavefront_size: 64
  - .args:
      - .actual_access:  write_only
        .address_space:  global
        .offset:         0
        .size:           8
        .value_kind:     global_buffer
      - .actual_access:  read_only
        .address_space:  global
        .offset:         8
        .size:           8
        .value_kind:     global_buffer
      - .address_space:  global
        .offset:         16
        .size:           8
        .value_kind:     global_buffer
      - .offset:         24
        .size:           4
        .value_kind:     by_value
      - .offset:         32
        .size:           4
        .value_kind:     hidden_block_count_x
      - .offset:         36
        .size:           4
        .value_kind:     hidden_block_count_y
      - .offset:         40
        .size:           4
        .value_kind:     hidden_block_count_z
      - .offset:         44
        .size:           2
        .value_kind:     hidden_group_size_x
      - .offset:         46
        .size:           2
        .value_kind:     hidden_group_size_y
      - .offset:         48
        .size:           2
        .value_kind:     hidden_group_size_z
      - .offset:         50
        .size:           2
        .value_kind:     hidden_remainder_x
      - .offset:         52
        .size:           2
        .value_kind:     hidden_remainder_y
      - .offset:         54
        .size:           2
        .value_kind:     hidden_remainder_z
      - .offset:         72
        .size:           8
        .value_kind:     hidden_global_offset_x
      - .offset:         80
        .size:           8
        .value_kind:     hidden_global_offset_y
      - .offset:         88
        .size:           8
        .value_kind:     hidden_global_offset_z
      - .offset:         96
        .size:           2
        .value_kind:     hidden_grid_dims
    .group_segment_fixed_size: 0
    .kernarg_segment_align: 8
    .kernarg_segment_size: 288
    .language:       OpenCL C
    .language_version:
      - 2
      - 0
    .max_flat_workgroup_size: 1024
    .name:           _ZN4vllm24act_and_mul_quant_kernelIN3c104HalfETnPFT_RKS3_EXadL_ZNS_11silu_kernelIS2_EES3_S5_EENS1_13Float8_e4m3fnEEEvPT1_PS4_PKfi
    .private_segment_fixed_size: 0
    .sgpr_count:     60
    .sgpr_spill_count: 0
    .symbol:         _ZN4vllm24act_and_mul_quant_kernelIN3c104HalfETnPFT_RKS3_EXadL_ZNS_11silu_kernelIS2_EES3_S5_EENS1_13Float8_e4m3fnEEEvPT1_PS4_PKfi.kd
    .uniform_work_group_size: 1
    .uses_dynamic_stack: false
    .vgpr_count:     34
    .vgpr_spill_count: 0
    .wavefront_size: 64
  - .args:
      - .actual_access:  write_only
        .address_space:  global
        .offset:         0
        .size:           8
        .value_kind:     global_buffer
      - .actual_access:  read_only
        .address_space:  global
        .offset:         8
        .size:           8
        .value_kind:     global_buffer
      - .address_space:  global
        .offset:         16
        .size:           8
        .value_kind:     global_buffer
      - .offset:         24
        .size:           4
        .value_kind:     by_value
      - .offset:         32
        .size:           4
        .value_kind:     hidden_block_count_x
      - .offset:         36
        .size:           4
        .value_kind:     hidden_block_count_y
      - .offset:         40
        .size:           4
        .value_kind:     hidden_block_count_z
      - .offset:         44
        .size:           2
        .value_kind:     hidden_group_size_x
      - .offset:         46
        .size:           2
        .value_kind:     hidden_group_size_y
      - .offset:         48
        .size:           2
        .value_kind:     hidden_group_size_z
      - .offset:         50
        .size:           2
        .value_kind:     hidden_remainder_x
      - .offset:         52
        .size:           2
        .value_kind:     hidden_remainder_y
      - .offset:         54
        .size:           2
        .value_kind:     hidden_remainder_z
      - .offset:         72
        .size:           8
        .value_kind:     hidden_global_offset_x
      - .offset:         80
        .size:           8
        .value_kind:     hidden_global_offset_y
      - .offset:         88
        .size:           8
        .value_kind:     hidden_global_offset_z
      - .offset:         96
        .size:           2
        .value_kind:     hidden_grid_dims
    .group_segment_fixed_size: 0
    .kernarg_segment_align: 8
    .kernarg_segment_size: 288
    .language:       OpenCL C
    .language_version:
      - 2
      - 0
    .max_flat_workgroup_size: 1024
    .name:           _ZN4vllm24act_and_mul_quant_kernelIN3c104HalfETnPFT_RKS3_EXadL_ZNS_11silu_kernelIS2_EES3_S5_EENS1_15Float8_e4m3fnuzEEEvPT1_PS4_PKfi
    .private_segment_fixed_size: 0
    .sgpr_count:     49
    .sgpr_spill_count: 0
    .symbol:         _ZN4vllm24act_and_mul_quant_kernelIN3c104HalfETnPFT_RKS3_EXadL_ZNS_11silu_kernelIS2_EES3_S5_EENS1_15Float8_e4m3fnuzEEEvPT1_PS4_PKfi.kd
    .uniform_work_group_size: 1
    .uses_dynamic_stack: false
    .vgpr_count:     33
    .vgpr_spill_count: 0
    .wavefront_size: 64
  - .args:
      - .actual_access:  write_only
        .address_space:  global
        .offset:         0
        .size:           8
        .value_kind:     global_buffer
      - .actual_access:  read_only
        .address_space:  global
        .offset:         8
        .size:           8
        .value_kind:     global_buffer
      - .address_space:  global
        .offset:         16
        .size:           8
        .value_kind:     global_buffer
      - .offset:         24
        .size:           4
        .value_kind:     by_value
      - .offset:         32
        .size:           4
        .value_kind:     hidden_block_count_x
      - .offset:         36
        .size:           4
        .value_kind:     hidden_block_count_y
      - .offset:         40
        .size:           4
        .value_kind:     hidden_block_count_z
      - .offset:         44
        .size:           2
        .value_kind:     hidden_group_size_x
      - .offset:         46
        .size:           2
        .value_kind:     hidden_group_size_y
      - .offset:         48
        .size:           2
        .value_kind:     hidden_group_size_z
      - .offset:         50
        .size:           2
        .value_kind:     hidden_remainder_x
      - .offset:         52
        .size:           2
        .value_kind:     hidden_remainder_y
      - .offset:         54
        .size:           2
        .value_kind:     hidden_remainder_z
      - .offset:         72
        .size:           8
        .value_kind:     hidden_global_offset_x
      - .offset:         80
        .size:           8
        .value_kind:     hidden_global_offset_y
      - .offset:         88
        .size:           8
        .value_kind:     hidden_global_offset_z
      - .offset:         96
        .size:           2
        .value_kind:     hidden_grid_dims
    .group_segment_fixed_size: 0
    .kernarg_segment_align: 8
    .kernarg_segment_size: 288
    .language:       OpenCL C
    .language_version:
      - 2
      - 0
    .max_flat_workgroup_size: 1024
    .name:           _ZN4vllm24act_and_mul_quant_kernelIN3c108BFloat16ETnPFT_RKS3_EXadL_ZNS_11silu_kernelIS2_EES3_S5_EENS1_13Float8_e4m3fnEEEvPT1_PS4_PKfi
    .private_segment_fixed_size: 0
    .sgpr_count:     56
    .sgpr_spill_count: 0
    .symbol:         _ZN4vllm24act_and_mul_quant_kernelIN3c108BFloat16ETnPFT_RKS3_EXadL_ZNS_11silu_kernelIS2_EES3_S5_EENS1_13Float8_e4m3fnEEEvPT1_PS4_PKfi.kd
    .uniform_work_group_size: 1
    .uses_dynamic_stack: false
    .vgpr_count:     33
    .vgpr_spill_count: 0
    .wavefront_size: 64
  - .args:
      - .actual_access:  write_only
        .address_space:  global
        .offset:         0
        .size:           8
        .value_kind:     global_buffer
      - .actual_access:  read_only
        .address_space:  global
        .offset:         8
        .size:           8
        .value_kind:     global_buffer
      - .address_space:  global
        .offset:         16
        .size:           8
        .value_kind:     global_buffer
      - .offset:         24
        .size:           4
        .value_kind:     by_value
      - .offset:         32
        .size:           4
        .value_kind:     hidden_block_count_x
      - .offset:         36
        .size:           4
        .value_kind:     hidden_block_count_y
      - .offset:         40
        .size:           4
        .value_kind:     hidden_block_count_z
      - .offset:         44
        .size:           2
        .value_kind:     hidden_group_size_x
      - .offset:         46
        .size:           2
        .value_kind:     hidden_group_size_y
      - .offset:         48
        .size:           2
        .value_kind:     hidden_group_size_z
      - .offset:         50
        .size:           2
        .value_kind:     hidden_remainder_x
      - .offset:         52
        .size:           2
        .value_kind:     hidden_remainder_y
      - .offset:         54
        .size:           2
        .value_kind:     hidden_remainder_z
      - .offset:         72
        .size:           8
        .value_kind:     hidden_global_offset_x
      - .offset:         80
        .size:           8
        .value_kind:     hidden_global_offset_y
      - .offset:         88
        .size:           8
        .value_kind:     hidden_global_offset_z
      - .offset:         96
        .size:           2
        .value_kind:     hidden_grid_dims
    .group_segment_fixed_size: 0
    .kernarg_segment_align: 8
    .kernarg_segment_size: 288
    .language:       OpenCL C
    .language_version:
      - 2
      - 0
    .max_flat_workgroup_size: 1024
    .name:           _ZN4vllm24act_and_mul_quant_kernelIN3c108BFloat16ETnPFT_RKS3_EXadL_ZNS_11silu_kernelIS2_EES3_S5_EENS1_15Float8_e4m3fnuzEEEvPT1_PS4_PKfi
    .private_segment_fixed_size: 0
    .sgpr_count:     52
    .sgpr_spill_count: 0
    .symbol:         _ZN4vllm24act_and_mul_quant_kernelIN3c108BFloat16ETnPFT_RKS3_EXadL_ZNS_11silu_kernelIS2_EES3_S5_EENS1_15Float8_e4m3fnuzEEEvPT1_PS4_PKfi.kd
    .uniform_work_group_size: 1
    .uses_dynamic_stack: false
    .vgpr_count:     34
    .vgpr_spill_count: 0
    .wavefront_size: 64
amdhsa.target:   amdgcn-amd-amdhsa--gfx906
amdhsa.version:
  - 1
  - 2
...

	.end_amdgpu_metadata
